;; amdgpu-corpus repo=ROCm/rocFFT kind=compiled arch=gfx1030 opt=O3
	.text
	.amdgcn_target "amdgcn-amd-amdhsa--gfx1030"
	.amdhsa_code_object_version 6
	.protected	bluestein_single_back_len234_dim1_dp_op_CI_CI ; -- Begin function bluestein_single_back_len234_dim1_dp_op_CI_CI
	.globl	bluestein_single_back_len234_dim1_dp_op_CI_CI
	.p2align	8
	.type	bluestein_single_back_len234_dim1_dp_op_CI_CI,@function
bluestein_single_back_len234_dim1_dp_op_CI_CI: ; @bluestein_single_back_len234_dim1_dp_op_CI_CI
; %bb.0:
	s_load_dwordx4 s[0:3], s[4:5], 0x28
	v_mul_u32_u24_e32 v1, 0x9d9, v0
	v_mov_b32_e32 v113, 0
	v_lshrrev_b32_e32 v1, 16, v1
	v_lshl_add_u32 v112, s6, 1, v1
	s_waitcnt lgkmcnt(0)
	v_cmp_gt_u64_e32 vcc_lo, s[0:1], v[112:113]
	s_and_saveexec_b32 s0, vcc_lo
	s_cbranch_execz .LBB0_23
; %bb.1:
	v_mul_lo_u16 v2, v1, 26
	s_clause 0x1
	s_load_dwordx2 s[14:15], s[4:5], 0x0
	s_load_dwordx2 s[12:13], s[4:5], 0x38
	v_and_b32_e32 v1, 1, v1
	v_sub_nc_u16 v0, v0, v2
	v_cmp_eq_u32_e32 vcc_lo, 1, v1
	v_and_b32_e32 v215, 0xffff, v0
	v_cndmask_b32_e64 v213, 0, 0xea, vcc_lo
	v_cmp_gt_u16_e32 vcc_lo, 18, v0
	v_lshlrev_b32_e32 v214, 4, v215
	v_lshlrev_b32_e32 v216, 4, v213
	s_and_saveexec_b32 s1, vcc_lo
	s_cbranch_execz .LBB0_3
; %bb.2:
	s_load_dwordx2 s[6:7], s[4:5], 0x18
	s_waitcnt lgkmcnt(0)
	v_add_co_u32 v36, s0, s14, v214
	v_add_co_ci_u32_e64 v37, null, s15, 0, s0
	s_load_dwordx4 s[8:11], s[6:7], 0x0
	s_waitcnt lgkmcnt(0)
	v_mad_u64_u32 v[24:25], null, s10, v112, 0
	v_mad_u64_u32 v[32:33], null, s8, v215, 0
	s_mul_i32 s6, s9, 0x120
	s_mul_hi_u32 s7, s8, 0x120
	s_add_i32 s7, s7, s6
	v_mov_b32_e32 v0, v25
	v_mov_b32_e32 v8, v33
	v_mad_u64_u32 v[9:10], null, s11, v112, v[0:1]
	s_clause 0x1
	global_load_dwordx4 v[0:3], v214, s[14:15]
	global_load_dwordx4 v[4:7], v214, s[14:15] offset:288
	v_mad_u64_u32 v[26:27], null, s9, v215, v[8:9]
	v_mov_b32_e32 v25, v9
	s_clause 0x3
	global_load_dwordx4 v[8:11], v214, s[14:15] offset:576
	global_load_dwordx4 v[12:15], v214, s[14:15] offset:864
	;; [unrolled: 1-line block ×4, first 2 shown]
	v_lshlrev_b64 v[34:35], 4, v[24:25]
	v_mov_b32_e32 v33, v26
	s_clause 0x1
	global_load_dwordx4 v[24:27], v214, s[14:15] offset:1728
	global_load_dwordx4 v[28:31], v214, s[14:15] offset:2016
	v_add_co_u32 v34, s0, s2, v34
	v_lshlrev_b64 v[32:33], 4, v[32:33]
	v_add_co_ci_u32_e64 v35, s0, s3, v35, s0
	s_mul_i32 s2, s8, 0x120
	v_add_co_u32 v40, s0, v34, v32
	v_add_co_ci_u32_e64 v41, s0, v35, v33, s0
	v_add_co_u32 v44, s0, v40, s2
	v_add_co_ci_u32_e64 v45, s0, s7, v41, s0
	;; [unrolled: 2-line block ×4, first 2 shown]
	s_clause 0x1
	global_load_dwordx4 v[32:35], v[96:97], off offset:256
	global_load_dwordx4 v[36:39], v[96:97], off offset:544
	v_add_co_u32 v52, s0, v48, s2
	v_add_co_ci_u32_e64 v53, s0, s7, v49, s0
	s_clause 0x1
	global_load_dwordx4 v[40:43], v[40:41], off
	global_load_dwordx4 v[44:47], v[44:45], off
	v_add_co_u32 v56, s0, v52, s2
	v_add_co_ci_u32_e64 v57, s0, s7, v53, s0
	s_clause 0x1
	global_load_dwordx4 v[48:51], v[48:49], off
	global_load_dwordx4 v[52:55], v[52:53], off
	v_add_co_u32 v60, s0, v56, s2
	v_add_co_ci_u32_e64 v61, s0, s7, v57, s0
	global_load_dwordx4 v[56:59], v[56:57], off
	v_add_co_u32 v64, s0, v60, s2
	v_add_co_ci_u32_e64 v65, s0, s7, v61, s0
	global_load_dwordx4 v[60:63], v[60:61], off
	v_add_co_u32 v68, s0, v64, s2
	v_add_co_ci_u32_e64 v69, s0, s7, v65, s0
	global_load_dwordx4 v[64:67], v[64:65], off
	v_add_co_u32 v72, s0, v68, s2
	v_add_co_ci_u32_e64 v73, s0, s7, v69, s0
	global_load_dwordx4 v[68:71], v[68:69], off
	v_add_co_u32 v76, s0, v72, s2
	v_add_co_ci_u32_e64 v77, s0, s7, v73, s0
	global_load_dwordx4 v[72:75], v[72:73], off
	v_add_co_u32 v80, s0, v76, s2
	v_add_co_ci_u32_e64 v81, s0, s7, v77, s0
	global_load_dwordx4 v[76:79], v[76:77], off
	v_add_co_u32 v92, s0, v80, s2
	v_add_co_ci_u32_e64 v93, s0, s7, v81, s0
	global_load_dwordx4 v[80:83], v[80:81], off
	v_add_co_u32 v100, s0, v92, s2
	v_add_co_ci_u32_e64 v101, s0, s7, v93, s0
	s_clause 0x1
	global_load_dwordx4 v[84:87], v[96:97], off offset:832
	global_load_dwordx4 v[88:91], v[96:97], off offset:1120
	global_load_dwordx4 v[92:95], v[92:93], off
	global_load_dwordx4 v[96:99], v[96:97], off offset:1408
	global_load_dwordx4 v[100:103], v[100:101], off
	s_waitcnt vmcnt(15)
	v_mul_f64 v[104:105], v[42:43], v[2:3]
	v_mul_f64 v[2:3], v[40:41], v[2:3]
	s_waitcnt vmcnt(14)
	v_mul_f64 v[106:107], v[46:47], v[6:7]
	v_mul_f64 v[6:7], v[44:45], v[6:7]
	s_waitcnt vmcnt(13)
	v_mul_f64 v[108:109], v[50:51], v[10:11]
	v_mul_f64 v[10:11], v[48:49], v[10:11]
	s_waitcnt vmcnt(12)
	v_mul_f64 v[110:111], v[54:55], v[14:15]
	v_mul_f64 v[14:15], v[52:53], v[14:15]
	s_waitcnt vmcnt(11)
	v_mul_f64 v[113:114], v[58:59], v[18:19]
	v_mul_f64 v[18:19], v[56:57], v[18:19]
	v_fma_f64 v[40:41], v[40:41], v[0:1], v[104:105]
	s_waitcnt vmcnt(10)
	v_mul_f64 v[104:105], v[62:63], v[22:23]
	v_mul_f64 v[22:23], v[60:61], v[22:23]
	v_fma_f64 v[42:43], v[42:43], v[0:1], -v[2:3]
	v_fma_f64 v[0:1], v[44:45], v[4:5], v[106:107]
	s_waitcnt vmcnt(9)
	v_mul_f64 v[44:45], v[66:67], v[26:27]
	v_mul_f64 v[26:27], v[64:65], v[26:27]
	v_fma_f64 v[2:3], v[46:47], v[4:5], -v[6:7]
	s_waitcnt vmcnt(8)
	v_mul_f64 v[46:47], v[70:71], v[30:31]
	v_mul_f64 v[30:31], v[68:69], v[30:31]
	s_waitcnt vmcnt(7)
	v_mul_f64 v[106:107], v[74:75], v[34:35]
	v_mul_f64 v[34:35], v[72:73], v[34:35]
	v_fma_f64 v[4:5], v[48:49], v[8:9], v[108:109]
	v_fma_f64 v[6:7], v[50:51], v[8:9], -v[10:11]
	s_waitcnt vmcnt(6)
	v_mul_f64 v[115:116], v[78:79], v[38:39]
	v_mul_f64 v[38:39], v[76:77], v[38:39]
	v_fma_f64 v[8:9], v[52:53], v[12:13], v[110:111]
	v_fma_f64 v[10:11], v[54:55], v[12:13], -v[14:15]
	v_fma_f64 v[12:13], v[56:57], v[16:17], v[113:114]
	v_fma_f64 v[14:15], v[58:59], v[16:17], -v[18:19]
	s_waitcnt vmcnt(4)
	v_mul_f64 v[117:118], v[82:83], v[86:87]
	v_mul_f64 v[86:87], v[80:81], v[86:87]
	s_waitcnt vmcnt(2)
	v_mul_f64 v[119:120], v[94:95], v[90:91]
	v_mul_f64 v[90:91], v[92:93], v[90:91]
	s_waitcnt vmcnt(0)
	v_mul_f64 v[121:122], v[102:103], v[98:99]
	v_mul_f64 v[98:99], v[100:101], v[98:99]
	v_fma_f64 v[16:17], v[60:61], v[20:21], v[104:105]
	v_fma_f64 v[18:19], v[62:63], v[20:21], -v[22:23]
	v_fma_f64 v[20:21], v[64:65], v[24:25], v[44:45]
	v_fma_f64 v[22:23], v[66:67], v[24:25], -v[26:27]
	;; [unrolled: 2-line block ×4, first 2 shown]
	v_lshl_add_u32 v52, v215, 4, v216
	v_add_nc_u32_e32 v53, v216, v214
	v_fma_f64 v[32:33], v[76:77], v[36:37], v[115:116]
	v_fma_f64 v[34:35], v[78:79], v[36:37], -v[38:39]
	v_fma_f64 v[36:37], v[80:81], v[84:85], v[117:118]
	v_fma_f64 v[38:39], v[82:83], v[84:85], -v[86:87]
	;; [unrolled: 2-line block ×4, first 2 shown]
	ds_write_b128 v52, v[40:43]
	ds_write_b128 v53, v[0:3] offset:288
	ds_write_b128 v53, v[4:7] offset:576
	;; [unrolled: 1-line block ×12, first 2 shown]
.LBB0_3:
	s_or_b32 exec_lo, exec_lo, s1
	s_clause 0x1
	s_load_dwordx2 s[6:7], s[4:5], 0x20
	s_load_dwordx2 s[2:3], s[4:5], 0x8
	s_waitcnt lgkmcnt(0)
	s_barrier
	buffer_gl0_inv
                                        ; implicit-def: $vgpr12_vgpr13
                                        ; implicit-def: $vgpr40_vgpr41
                                        ; implicit-def: $vgpr44_vgpr45
                                        ; implicit-def: $vgpr48_vgpr49
                                        ; implicit-def: $vgpr60_vgpr61
                                        ; implicit-def: $vgpr56_vgpr57
                                        ; implicit-def: $vgpr52_vgpr53
                                        ; implicit-def: $vgpr36_vgpr37
                                        ; implicit-def: $vgpr32_vgpr33
                                        ; implicit-def: $vgpr28_vgpr29
                                        ; implicit-def: $vgpr24_vgpr25
                                        ; implicit-def: $vgpr20_vgpr21
                                        ; implicit-def: $vgpr16_vgpr17
	s_and_saveexec_b32 s0, vcc_lo
	s_cbranch_execz .LBB0_5
; %bb.4:
	v_lshl_add_u32 v0, v213, 4, v214
	ds_read_b128 v[12:15], v0
	ds_read_b128 v[40:43], v0 offset:288
	ds_read_b128 v[44:47], v0 offset:576
	;; [unrolled: 1-line block ×12, first 2 shown]
.LBB0_5:
	s_or_b32 exec_lo, exec_lo, s0
	s_waitcnt lgkmcnt(0)
	v_add_f64 v[92:93], v[42:43], -v[18:19]
	v_add_f64 v[98:99], v[40:41], -v[16:17]
	s_mov_b32 s0, 0x4267c47c
	s_mov_b32 s1, 0xbfddbe06
	v_add_f64 v[90:91], v[40:41], v[16:17]
	v_add_f64 v[96:97], v[42:43], v[18:19]
	v_add_f64 v[72:73], v[46:47], -v[22:23]
	v_add_f64 v[68:69], v[44:45], -v[20:21]
	s_mov_b32 s4, 0xe00740e9
	s_mov_b32 s8, 0x42a4c3d2
	;; [unrolled: 1-line block ×8, first 2 shown]
	v_add_f64 v[70:71], v[44:45], v[20:21]
	v_add_f64 v[76:77], v[46:47], v[22:23]
	v_add_f64 v[80:81], v[50:51], -v[26:27]
	v_add_f64 v[74:75], v[48:49], -v[24:25]
	s_mov_b32 s10, 0x1ea71119
	s_mov_b32 s20, 0xebaa3ed8
	v_mul_f64 v[108:109], v[92:93], s[0:1]
	v_mul_f64 v[113:114], v[98:99], s[0:1]
	;; [unrolled: 1-line block ×10, first 2 shown]
	s_mov_b32 s18, 0xb2365da1
	s_mov_b32 s38, 0x24c2f84
	;; [unrolled: 1-line block ×8, first 2 shown]
	v_add_f64 v[78:79], v[48:49], v[24:25]
	v_add_f64 v[86:87], v[50:51], v[26:27]
	v_add_f64 v[88:89], v[62:63], -v[30:31]
	v_add_f64 v[84:85], v[60:61], -v[28:29]
	v_fma_f64 v[0:1], v[90:91], s[4:5], v[108:109]
	v_fma_f64 v[2:3], v[96:97], s[4:5], -v[113:114]
	v_mul_f64 v[133:134], v[80:81], s[16:17]
	v_mul_f64 v[137:138], v[74:75], s[16:17]
	v_mul_f64 v[141:142], v[72:73], s[22:23]
	v_mul_f64 v[149:150], v[68:69], s[22:23]
	v_fma_f64 v[4:5], v[70:71], s[10:11], v[115:116]
	v_fma_f64 v[6:7], v[76:77], s[10:11], -v[117:118]
	v_fma_f64 v[8:9], v[90:91], s[10:11], v[139:140]
	v_fma_f64 v[10:11], v[96:97], s[10:11], -v[147:148]
	v_mul_f64 v[129:130], v[72:73], s[30:31]
	v_mul_f64 v[131:132], v[68:69], s[30:31]
	v_fma_f64 v[64:65], v[90:91], s[20:21], v[173:174]
	v_fma_f64 v[66:67], v[96:97], s[20:21], -v[179:180]
	v_mul_f64 v[121:122], v[72:73], s[38:39]
	v_mul_f64 v[125:126], v[68:69], s[38:39]
	v_fma_f64 v[119:120], v[90:91], s[18:19], v[199:200]
	v_fma_f64 v[123:124], v[96:97], s[18:19], -v[205:206]
	s_mov_b32 s24, 0xd0032e0c
	s_mov_b32 s28, 0x93053d00
	;; [unrolled: 1-line block ×4, first 2 shown]
	v_add_f64 v[0:1], v[12:13], v[0:1]
	v_add_f64 v[2:3], v[14:15], v[2:3]
	s_mov_b32 s37, 0x3fddbe06
	s_mov_b32 s35, 0x3fedeba7
	;; [unrolled: 1-line block ×4, first 2 shown]
	v_add_f64 v[82:83], v[60:61], v[28:29]
	v_add_f64 v[94:95], v[62:63], v[30:31]
	v_mul_f64 v[167:168], v[88:89], s[22:23]
	v_mul_f64 v[169:170], v[84:85], s[22:23]
	;; [unrolled: 1-line block ×4, first 2 shown]
	v_fma_f64 v[145:146], v[78:79], s[20:21], v[133:134]
	v_fma_f64 v[153:154], v[86:87], s[20:21], -v[137:138]
	v_fma_f64 v[157:158], v[70:71], s[18:19], v[141:142]
	v_fma_f64 v[161:162], v[76:77], s[18:19], -v[149:150]
	v_add_f64 v[8:9], v[12:13], v[8:9]
	v_mul_f64 v[143:144], v[80:81], s[34:35]
	v_mul_f64 v[151:152], v[74:75], s[34:35]
	v_add_f64 v[64:65], v[12:13], v[64:65]
	v_add_f64 v[66:67], v[14:15], v[66:67]
	v_mul_f64 v[127:128], v[80:81], s[36:37]
	v_add_f64 v[0:1], v[4:5], v[0:1]
	v_add_f64 v[2:3], v[6:7], v[2:3]
	;; [unrolled: 1-line block ×3, first 2 shown]
	v_fma_f64 v[6:7], v[70:71], s[28:29], v[129:130]
	v_fma_f64 v[10:11], v[76:77], s[28:29], -v[131:132]
	v_mul_f64 v[135:136], v[74:75], s[36:37]
	v_fma_f64 v[163:164], v[70:71], s[24:25], v[121:122]
	v_fma_f64 v[171:172], v[76:77], s[24:25], -v[125:126]
	v_add_f64 v[175:176], v[12:13], v[119:120]
	v_add_f64 v[123:124], v[14:15], v[123:124]
	v_add_f64 v[100:101], v[58:59], -v[34:35]
	v_add_f64 v[104:105], v[56:57], -v[32:33]
	v_fma_f64 v[181:182], v[82:83], s[18:19], v[167:168]
	v_fma_f64 v[183:184], v[94:95], s[18:19], -v[169:170]
	v_fma_f64 v[187:188], v[78:79], s[28:29], v[155:156]
	v_fma_f64 v[189:190], v[86:87], s[28:29], -v[159:160]
	v_add_f64 v[8:9], v[157:158], v[8:9]
	v_mul_f64 v[177:178], v[88:89], s[38:39]
	v_mul_f64 v[185:186], v[84:85], s[38:39]
	v_fma_f64 v[193:194], v[86:87], s[18:19], -v[151:152]
	v_mul_f64 v[165:166], v[84:85], s[36:37]
	v_mul_f64 v[157:158], v[84:85], s[16:17]
	v_add_f64 v[0:1], v[145:146], v[0:1]
	v_add_f64 v[2:3], v[153:154], v[2:3]
	;; [unrolled: 1-line block ×3, first 2 shown]
	v_fma_f64 v[145:146], v[78:79], s[18:19], v[143:144]
	v_add_f64 v[6:7], v[6:7], v[64:65]
	v_add_f64 v[10:11], v[10:11], v[66:67]
	v_mul_f64 v[161:162], v[88:89], s[36:37]
	v_fma_f64 v[64:65], v[78:79], s[4:5], v[127:128]
	v_fma_f64 v[66:67], v[86:87], s[4:5], -v[135:136]
	v_add_f64 v[163:164], v[163:164], v[175:176]
	v_add_f64 v[123:124], v[171:172], v[123:124]
	v_mul_f64 v[153:154], v[88:89], s[16:17]
	s_mov_b32 s27, 0xbfe5384d
	s_mov_b32 s26, s38
	;; [unrolled: 1-line block ×6, first 2 shown]
	v_add_f64 v[102:103], v[56:57], v[32:33]
	v_add_f64 v[106:107], v[58:59], v[34:35]
	v_add_f64 v[110:111], v[54:55], -v[38:39]
	v_add_f64 v[119:120], v[52:53], -v[36:37]
	v_mul_f64 v[197:198], v[100:101], s[26:27]
	v_mul_f64 v[201:202], v[104:105], s[26:27]
	v_add_f64 v[8:9], v[187:188], v[8:9]
	v_add_f64 v[0:1], v[181:182], v[0:1]
	;; [unrolled: 1-line block ×4, first 2 shown]
	v_fma_f64 v[181:182], v[82:83], s[24:25], v[177:178]
	v_fma_f64 v[187:188], v[94:95], s[24:25], -v[185:186]
	v_mul_f64 v[191:192], v[100:101], s[40:41]
	v_mul_f64 v[195:196], v[104:105], s[40:41]
	v_add_f64 v[6:7], v[145:146], v[6:7]
	v_add_f64 v[10:11], v[193:194], v[10:11]
	v_fma_f64 v[189:190], v[82:83], s[4:5], v[161:162]
	v_fma_f64 v[193:194], v[94:95], s[4:5], -v[165:166]
	v_mul_f64 v[175:176], v[100:101], s[8:9]
	v_mul_f64 v[183:184], v[104:105], s[8:9]
	v_add_f64 v[64:65], v[64:65], v[163:164]
	v_add_f64 v[66:67], v[66:67], v[123:124]
	v_fma_f64 v[217:218], v[82:83], s[20:21], v[153:154]
	v_fma_f64 v[219:220], v[94:95], s[20:21], -v[157:158]
	v_mul_f64 v[163:164], v[100:101], s[44:45]
	v_mul_f64 v[171:172], v[104:105], s[44:45]
	s_mov_b32 s43, 0x3fea55e2
	s_mov_b32 s42, s8
	v_fma_f64 v[221:222], v[102:103], s[24:25], v[197:198]
	v_fma_f64 v[223:224], v[106:107], s[24:25], -v[201:202]
	v_add_f64 v[123:124], v[52:53], v[36:37]
	v_mul_f64 v[209:210], v[110:111], s[30:31]
	v_add_f64 v[145:146], v[54:55], v[38:39]
	v_mul_f64 v[211:212], v[119:120], s[30:31]
	v_add_f64 v[8:9], v[181:182], v[8:9]
	v_add_f64 v[4:5], v[187:188], v[4:5]
	v_fma_f64 v[225:226], v[102:103], s[20:21], v[191:192]
	v_fma_f64 v[227:228], v[106:107], s[20:21], -v[195:196]
	v_mul_f64 v[203:204], v[110:111], s[36:37]
	v_mul_f64 v[207:208], v[119:120], s[36:37]
	v_add_f64 v[6:7], v[189:190], v[6:7]
	v_add_f64 v[10:11], v[193:194], v[10:11]
	v_fma_f64 v[229:230], v[102:103], s[10:11], v[175:176]
	v_fma_f64 v[231:232], v[106:107], s[10:11], -v[183:184]
	v_mul_f64 v[189:190], v[110:111], s[26:27]
	;; [unrolled: 6-line block ×3, first 2 shown]
	v_mul_f64 v[187:188], v[119:120], s[42:43]
	v_add_f64 v[0:1], v[221:222], v[0:1]
	v_add_f64 v[2:3], v[223:224], v[2:3]
	v_fma_f64 v[221:222], v[123:124], s[28:29], v[209:210]
	v_fma_f64 v[223:224], v[145:146], s[28:29], -v[211:212]
	s_barrier
	v_add_f64 v[8:9], v[225:226], v[8:9]
	v_add_f64 v[225:226], v[227:228], v[4:5]
	v_fma_f64 v[4:5], v[123:124], s[4:5], v[203:204]
	v_fma_f64 v[227:228], v[145:146], s[4:5], -v[207:208]
	buffer_gl0_inv
	v_add_f64 v[229:230], v[229:230], v[6:7]
	v_add_f64 v[10:11], v[231:232], v[10:11]
	v_fma_f64 v[231:232], v[123:124], s[24:25], v[189:190]
	v_fma_f64 v[233:234], v[145:146], s[24:25], -v[193:194]
	v_add_f64 v[64:65], v[217:218], v[64:65]
	v_add_f64 v[66:67], v[219:220], v[66:67]
	v_fma_f64 v[217:218], v[123:124], s[10:11], v[181:182]
	v_fma_f64 v[219:220], v[145:146], s[10:11], -v[187:188]
	v_add_f64 v[0:1], v[221:222], v[0:1]
	v_add_f64 v[2:3], v[223:224], v[2:3]
	;; [unrolled: 1-line block ×8, first 2 shown]
	v_mul_lo_u16 v217, v215, 13
	s_and_saveexec_b32 s33, vcc_lo
	s_cbranch_execz .LBB0_7
; %bb.6:
	v_add_f64 v[40:41], v[12:13], v[40:41]
	v_add_f64 v[42:43], v[14:15], v[42:43]
	;; [unrolled: 1-line block ×4, first 2 shown]
	v_mul_f64 v[44:45], v[92:93], s[26:27]
	v_add_f64 v[40:41], v[40:41], v[48:49]
	v_add_f64 v[42:43], v[42:43], v[50:51]
	v_mul_f64 v[50:51], v[90:91], s[4:5]
	v_fma_f64 v[48:49], v[90:91], s[24:25], v[44:45]
	v_fma_f64 v[44:45], v[90:91], s[24:25], -v[44:45]
	v_add_f64 v[40:41], v[40:41], v[60:61]
	v_add_f64 v[42:43], v[42:43], v[62:63]
	v_add_f64 v[50:51], v[50:51], -v[108:109]
	v_add_f64 v[48:49], v[12:13], v[48:49]
	v_add_f64 v[44:45], v[12:13], v[44:45]
	v_mul_f64 v[62:63], v[80:81], s[26:27]
	v_mul_f64 v[108:109], v[145:146], s[20:21]
	v_add_f64 v[40:41], v[40:41], v[56:57]
	v_add_f64 v[42:43], v[42:43], v[58:59]
	;; [unrolled: 1-line block ×6, first 2 shown]
	v_mul_f64 v[40:41], v[96:97], s[4:5]
	v_mul_f64 v[42:43], v[92:93], s[30:31]
	;; [unrolled: 1-line block ×3, first 2 shown]
	v_add_f64 v[32:33], v[36:37], v[32:33]
	v_add_f64 v[34:35], v[38:39], v[34:35]
	v_mul_f64 v[36:37], v[96:97], s[10:11]
	v_mul_f64 v[38:39], v[90:91], s[10:11]
	v_add_f64 v[40:41], v[113:114], v[40:41]
	v_fma_f64 v[46:47], v[90:91], s[28:29], v[42:43]
	v_fma_f64 v[42:43], v[90:91], s[28:29], -v[42:43]
	v_mul_f64 v[113:114], v[110:111], s[40:41]
	v_add_f64 v[28:29], v[32:33], v[28:29]
	v_add_f64 v[30:31], v[34:35], v[30:31]
	v_mul_f64 v[32:33], v[96:97], s[20:21]
	v_mul_f64 v[34:35], v[90:91], s[20:21]
	v_add_f64 v[36:37], v[147:148], v[36:37]
	v_add_f64 v[38:39], v[38:39], -v[139:140]
	v_add_f64 v[46:47], v[12:13], v[46:47]
	v_add_f64 v[42:43], v[12:13], v[42:43]
	;; [unrolled: 1-line block ×4, first 2 shown]
	v_mul_f64 v[28:29], v[96:97], s[18:19]
	v_add_f64 v[32:33], v[179:180], v[32:33]
	v_mul_f64 v[30:31], v[90:91], s[18:19]
	v_add_f64 v[34:35], v[34:35], -v[173:174]
	v_mul_f64 v[90:91], v[94:95], s[10:11]
	v_add_f64 v[20:21], v[24:25], v[20:21]
	v_add_f64 v[22:23], v[26:27], v[22:23]
	v_mul_f64 v[24:25], v[96:97], s[24:25]
	v_add_f64 v[28:29], v[205:206], v[28:29]
	v_add_f64 v[30:31], v[30:31], -v[199:200]
	v_add_f64 v[16:17], v[20:21], v[16:17]
	v_mul_f64 v[20:21], v[96:97], s[28:29]
	v_add_f64 v[18:19], v[22:23], v[18:19]
	v_fma_f64 v[26:27], v[98:99], s[38:39], v[24:25]
	v_fma_f64 v[24:25], v[98:99], s[26:27], v[24:25]
	v_add_f64 v[58:59], v[14:15], v[28:29]
	v_add_f64 v[28:29], v[14:15], v[32:33]
	;; [unrolled: 1-line block ×3, first 2 shown]
	v_mul_f64 v[50:51], v[72:73], s[36:37]
	v_add_f64 v[60:61], v[12:13], v[30:31]
	v_add_f64 v[30:31], v[12:13], v[34:35]
	v_mul_f64 v[96:97], v[106:107], s[18:19]
	v_mul_f64 v[34:35], v[70:71], s[10:11]
	v_fma_f64 v[22:23], v[98:99], s[44:45], v[20:21]
	v_fma_f64 v[20:21], v[98:99], s[30:31], v[20:21]
	v_add_f64 v[54:55], v[14:15], v[26:27]
	v_add_f64 v[56:57], v[14:15], v[24:25]
	;; [unrolled: 1-line block ×4, first 2 shown]
	v_mul_f64 v[98:99], v[100:101], s[22:23]
	v_mul_f64 v[36:37], v[86:87], s[20:21]
	;; [unrolled: 1-line block ×3, first 2 shown]
	v_add_f64 v[34:35], v[34:35], -v[115:116]
	v_mul_f64 v[115:116], v[94:95], s[18:19]
	v_add_f64 v[22:23], v[14:15], v[22:23]
	v_add_f64 v[52:53], v[14:15], v[20:21]
	;; [unrolled: 1-line block ×3, first 2 shown]
	v_mul_f64 v[40:41], v[76:77], s[4:5]
	v_fma_f64 v[14:15], v[70:71], s[4:5], v[50:51]
	v_fma_f64 v[50:51], v[70:71], s[4:5], -v[50:51]
	v_add_f64 v[36:37], v[137:138], v[36:37]
	v_add_f64 v[38:39], v[38:39], -v[133:134]
	v_mul_f64 v[133:134], v[106:107], s[24:25]
	v_add_f64 v[115:116], v[169:170], v[115:116]
	v_fma_f64 v[12:13], v[68:69], s[0:1], v[40:41]
	v_add_f64 v[14:15], v[14:15], v[46:47]
	v_mul_f64 v[46:47], v[86:87], s[24:25]
	v_fma_f64 v[40:41], v[68:69], s[36:37], v[40:41]
	v_add_f64 v[42:43], v[50:51], v[42:43]
	v_fma_f64 v[50:51], v[123:124], s[20:21], -v[113:114]
	v_add_f64 v[133:134], v[201:202], v[133:134]
	v_add_f64 v[12:13], v[12:13], v[22:23]
	v_fma_f64 v[22:23], v[74:75], s[38:39], v[46:47]
	v_add_f64 v[40:41], v[40:41], v[52:53]
	v_fma_f64 v[46:47], v[74:75], s[26:27], v[46:47]
	v_add_f64 v[12:13], v[22:23], v[12:13]
	v_fma_f64 v[22:23], v[78:79], s[24:25], v[62:63]
	v_add_f64 v[40:41], v[46:47], v[40:41]
	v_fma_f64 v[46:47], v[78:79], s[24:25], -v[62:63]
	v_add_f64 v[14:15], v[22:23], v[14:15]
	v_fma_f64 v[22:23], v[84:85], s[8:9], v[90:91]
	v_add_f64 v[42:43], v[46:47], v[42:43]
	v_fma_f64 v[46:47], v[84:85], s[42:43], v[90:91]
	v_add_f64 v[12:13], v[22:23], v[12:13]
	v_fma_f64 v[22:23], v[82:83], s[10:11], v[92:93]
	v_add_f64 v[40:41], v[46:47], v[40:41]
	v_fma_f64 v[46:47], v[82:83], s[10:11], -v[92:93]
	v_add_f64 v[14:15], v[22:23], v[14:15]
	v_fma_f64 v[22:23], v[104:105], s[34:35], v[96:97]
	v_add_f64 v[42:43], v[46:47], v[42:43]
	v_fma_f64 v[46:47], v[104:105], s[22:23], v[96:97]
	v_add_f64 v[12:13], v[22:23], v[12:13]
	v_fma_f64 v[22:23], v[102:103], s[18:19], v[98:99]
	v_add_f64 v[40:41], v[46:47], v[40:41]
	v_fma_f64 v[46:47], v[102:103], s[18:19], -v[98:99]
	v_add_f64 v[22:23], v[22:23], v[14:15]
	v_fma_f64 v[14:15], v[119:120], s[16:17], v[108:109]
	v_add_f64 v[46:47], v[46:47], v[42:43]
	v_fma_f64 v[42:43], v[119:120], s[40:41], v[108:109]
	;; [unrolled: 2-line block ×3, first 2 shown]
	v_add_f64 v[42:43], v[42:43], v[40:41]
	v_add_f64 v[40:41], v[50:51], v[46:47]
	;; [unrolled: 1-line block ×3, first 2 shown]
	v_mul_f64 v[22:23], v[76:77], s[10:11]
	v_add_f64 v[22:23], v[117:118], v[22:23]
	v_mul_f64 v[117:118], v[82:83], s[18:19]
	v_add_f64 v[20:21], v[22:23], v[20:21]
	v_add_f64 v[22:23], v[34:35], v[32:33]
	v_add_f64 v[117:118], v[117:118], -v[167:168]
	v_mul_f64 v[32:33], v[102:103], s[24:25]
	v_mul_f64 v[34:35], v[145:146], s[28:29]
	v_add_f64 v[20:21], v[36:37], v[20:21]
	v_add_f64 v[22:23], v[38:39], v[22:23]
	v_mul_f64 v[36:37], v[123:124], s[28:29]
	v_add_f64 v[32:33], v[32:33], -v[197:198]
	v_add_f64 v[34:35], v[211:212], v[34:35]
	v_mul_f64 v[38:39], v[78:79], s[28:29]
	v_add_f64 v[20:21], v[115:116], v[20:21]
	v_add_f64 v[22:23], v[117:118], v[22:23]
	v_add_f64 v[36:37], v[36:37], -v[209:210]
	v_mul_f64 v[115:116], v[94:95], s[24:25]
	v_mul_f64 v[117:118], v[82:83], s[24:25]
	v_add_f64 v[38:39], v[38:39], -v[155:156]
	v_add_f64 v[20:21], v[133:134], v[20:21]
	v_add_f64 v[32:33], v[32:33], v[22:23]
	v_mul_f64 v[133:134], v[106:107], s[20:21]
	v_add_f64 v[115:116], v[185:186], v[115:116]
	v_add_f64 v[117:118], v[117:118], -v[177:178]
	v_add_f64 v[22:23], v[34:35], v[20:21]
	v_add_f64 v[20:21], v[36:37], v[32:33]
	v_mul_f64 v[32:33], v[76:77], s[18:19]
	v_mul_f64 v[34:35], v[70:71], s[18:19]
	;; [unrolled: 1-line block ×3, first 2 shown]
	v_add_f64 v[133:134], v[195:196], v[133:134]
	v_add_f64 v[32:33], v[149:150], v[32:33]
	v_add_f64 v[34:35], v[34:35], -v[141:142]
	v_add_f64 v[36:37], v[159:160], v[36:37]
	v_add_f64 v[24:25], v[32:33], v[24:25]
	;; [unrolled: 1-line block ×3, first 2 shown]
	v_mul_f64 v[32:33], v[102:103], s[20:21]
	v_mul_f64 v[34:35], v[145:146], s[4:5]
	v_add_f64 v[24:25], v[36:37], v[24:25]
	v_add_f64 v[26:27], v[38:39], v[26:27]
	v_add_f64 v[32:33], v[32:33], -v[191:192]
	v_mul_f64 v[36:37], v[123:124], s[4:5]
	v_add_f64 v[34:35], v[207:208], v[34:35]
	v_mul_f64 v[38:39], v[78:79], s[18:19]
	v_add_f64 v[24:25], v[115:116], v[24:25]
	v_add_f64 v[26:27], v[117:118], v[26:27]
	v_mul_f64 v[115:116], v[94:95], s[4:5]
	v_add_f64 v[36:37], v[36:37], -v[203:204]
	v_mul_f64 v[117:118], v[82:83], s[4:5]
	v_add_f64 v[38:39], v[38:39], -v[143:144]
	v_add_f64 v[24:25], v[133:134], v[24:25]
	v_add_f64 v[32:33], v[32:33], v[26:27]
	;; [unrolled: 1-line block ×3, first 2 shown]
	v_add_f64 v[117:118], v[117:118], -v[161:162]
	v_add_f64 v[26:27], v[34:35], v[24:25]
	v_add_f64 v[24:25], v[36:37], v[32:33]
	v_mul_f64 v[32:33], v[76:77], s[28:29]
	v_mul_f64 v[34:35], v[70:71], s[28:29]
	;; [unrolled: 1-line block ×3, first 2 shown]
	v_add_f64 v[32:33], v[131:132], v[32:33]
	v_add_f64 v[34:35], v[34:35], -v[129:130]
	v_add_f64 v[36:37], v[151:152], v[36:37]
	v_mul_f64 v[129:130], v[106:107], s[10:11]
	v_add_f64 v[28:29], v[32:33], v[28:29]
	v_add_f64 v[30:31], v[34:35], v[30:31]
	v_mul_f64 v[32:33], v[102:103], s[10:11]
	v_add_f64 v[129:130], v[183:184], v[129:130]
	v_mul_f64 v[34:35], v[145:146], s[24:25]
	v_add_f64 v[28:29], v[36:37], v[28:29]
	v_add_f64 v[30:31], v[38:39], v[30:31]
	v_add_f64 v[32:33], v[32:33], -v[175:176]
	v_mul_f64 v[36:37], v[123:124], s[24:25]
	v_add_f64 v[34:35], v[193:194], v[34:35]
	v_mul_f64 v[38:39], v[78:79], s[4:5]
	v_add_f64 v[28:29], v[115:116], v[28:29]
	v_add_f64 v[30:31], v[117:118], v[30:31]
	v_mul_f64 v[115:116], v[94:95], s[20:21]
	v_add_f64 v[36:37], v[36:37], -v[189:190]
	v_mul_f64 v[117:118], v[82:83], s[20:21]
	v_add_f64 v[38:39], v[38:39], -v[127:128]
	v_add_f64 v[28:29], v[129:130], v[28:29]
	v_add_f64 v[32:33], v[32:33], v[30:31]
	;; [unrolled: 1-line block ×3, first 2 shown]
	v_add_f64 v[117:118], v[117:118], -v[153:154]
	v_add_f64 v[30:31], v[34:35], v[28:29]
	v_add_f64 v[28:29], v[36:37], v[32:33]
	v_mul_f64 v[32:33], v[76:77], s[24:25]
	v_mul_f64 v[36:37], v[70:71], s[24:25]
	;; [unrolled: 1-line block ×3, first 2 shown]
	v_add_f64 v[32:33], v[125:126], v[32:33]
	v_add_f64 v[36:37], v[36:37], -v[121:122]
	v_add_f64 v[34:35], v[135:136], v[34:35]
	v_mul_f64 v[121:122], v[106:107], s[28:29]
	v_add_f64 v[32:33], v[32:33], v[58:59]
	v_add_f64 v[36:37], v[36:37], v[60:61]
	v_mul_f64 v[58:59], v[102:103], s[28:29]
	v_add_f64 v[121:122], v[171:172], v[121:122]
	v_add_f64 v[32:33], v[34:35], v[32:33]
	;; [unrolled: 1-line block ×3, first 2 shown]
	v_add_f64 v[58:59], v[58:59], -v[163:164]
	v_mul_f64 v[36:37], v[145:146], s[10:11]
	v_mul_f64 v[38:39], v[123:124], s[10:11]
	v_add_f64 v[32:33], v[115:116], v[32:33]
	v_add_f64 v[34:35], v[117:118], v[34:35]
	;; [unrolled: 1-line block ×3, first 2 shown]
	v_add_f64 v[38:39], v[38:39], -v[181:182]
	v_add_f64 v[32:33], v[121:122], v[32:33]
	v_add_f64 v[58:59], v[58:59], v[34:35]
	;; [unrolled: 1-line block ×4, first 2 shown]
	v_mul_f64 v[58:59], v[76:77], s[20:21]
	v_fma_f64 v[36:37], v[68:69], s[40:41], v[58:59]
	v_fma_f64 v[46:47], v[68:69], s[16:17], v[58:59]
	v_add_f64 v[36:37], v[36:37], v[56:57]
	v_mul_f64 v[56:57], v[72:73], s[40:41]
	v_add_f64 v[46:47], v[46:47], v[54:55]
	v_fma_f64 v[38:39], v[70:71], s[20:21], -v[56:57]
	v_fma_f64 v[50:51], v[70:71], s[20:21], v[56:57]
	v_add_f64 v[38:39], v[38:39], v[44:45]
	v_mul_f64 v[44:45], v[86:87], s[10:11]
	v_add_f64 v[48:49], v[50:51], v[48:49]
	v_fma_f64 v[60:61], v[74:75], s[8:9], v[44:45]
	v_fma_f64 v[44:45], v[74:75], s[42:43], v[44:45]
	v_add_f64 v[36:37], v[60:61], v[36:37]
	v_mul_f64 v[60:61], v[80:81], s[8:9]
	v_add_f64 v[44:45], v[44:45], v[46:47]
	v_fma_f64 v[72:73], v[78:79], s[10:11], -v[60:61]
	v_fma_f64 v[50:51], v[78:79], s[10:11], v[60:61]
	v_add_f64 v[38:39], v[72:73], v[38:39]
	v_mul_f64 v[72:73], v[94:95], s[28:29]
	v_mul_f64 v[94:95], v[145:146], s[18:19]
	v_add_f64 v[48:49], v[50:51], v[48:49]
	v_fma_f64 v[76:77], v[84:85], s[44:45], v[72:73]
	v_fma_f64 v[52:53], v[84:85], s[30:31], v[72:73]
	v_add_f64 v[36:37], v[76:77], v[36:37]
	v_mul_f64 v[76:77], v[88:89], s[44:45]
	v_add_f64 v[44:45], v[52:53], v[44:45]
	v_fma_f64 v[52:53], v[119:120], s[34:35], v[94:95]
	v_fma_f64 v[80:81], v[82:83], s[28:29], -v[76:77]
	v_fma_f64 v[46:47], v[82:83], s[28:29], v[76:77]
	v_add_f64 v[38:39], v[80:81], v[38:39]
	v_mul_f64 v[80:81], v[106:107], s[4:5]
	v_add_f64 v[46:47], v[46:47], v[48:49]
	v_fma_f64 v[86:87], v[104:105], s[36:37], v[80:81]
	v_fma_f64 v[50:51], v[104:105], s[0:1], v[80:81]
	v_add_f64 v[36:37], v[86:87], v[36:37]
	v_mul_f64 v[86:87], v[100:101], s[36:37]
	v_mul_f64 v[100:101], v[110:111], s[22:23]
	v_add_f64 v[44:45], v[50:51], v[44:45]
	v_fma_f64 v[88:89], v[102:103], s[4:5], -v[86:87]
	v_fma_f64 v[48:49], v[102:103], s[4:5], v[86:87]
	v_fma_f64 v[50:51], v[123:124], s[18:19], v[100:101]
	v_add_f64 v[88:89], v[88:89], v[38:39]
	v_fma_f64 v[38:39], v[119:120], s[22:23], v[94:95]
	v_add_f64 v[48:49], v[48:49], v[46:47]
	v_add_f64 v[46:47], v[52:53], v[44:45]
	;; [unrolled: 1-line block ×3, first 2 shown]
	v_fma_f64 v[36:37], v[123:124], s[18:19], -v[100:101]
	v_add_f64 v[44:45], v[50:51], v[48:49]
	v_and_b32_e32 v48, 0xffff, v217
	v_add_lshl_u32 v48, v213, v48, 4
	v_add_f64 v[36:37], v[36:37], v[88:89]
	ds_write_b128 v48, v[16:19]
	ds_write_b128 v48, v[20:23] offset:16
	ds_write_b128 v48, v[24:27] offset:32
	;; [unrolled: 1-line block ×12, first 2 shown]
.LBB0_7:
	s_or_b32 exec_lo, exec_lo, s33
	v_add_co_u32 v44, s0, v215, -13
	v_add_co_ci_u32_e64 v45, null, 0, -1, s0
	v_cmp_gt_u16_e64 s0, 13, v215
	s_load_dwordx4 s[4:7], s[6:7], 0x0
	s_waitcnt lgkmcnt(0)
	s_barrier
	buffer_gl0_inv
	v_cndmask_b32_e64 v63, v45, 0, s0
	v_cndmask_b32_e64 v62, v44, v215, s0
	v_add_lshl_u32 v181, v213, v215, 4
	s_mov_b32 s10, 0x8c811c17
	s_mov_b32 s16, 0xa2cf5039
	;; [unrolled: 1-line block ×3, first 2 shown]
	v_lshlrev_b64 v[12:13], 7, v[62:63]
	s_mov_b32 s8, 0x523c161c
	s_mov_b32 s11, 0x3fef838b
	;; [unrolled: 1-line block ×5, first 2 shown]
	v_add_co_u32 v12, s1, s2, v12
	v_add_co_ci_u32_e64 v13, s1, s3, v13, s1
	s_clause 0x7
	global_load_dwordx4 v[20:23], v[12:13], off
	global_load_dwordx4 v[28:31], v[12:13], off offset:112
	global_load_dwordx4 v[24:27], v[12:13], off offset:48
	;; [unrolled: 1-line block ×7, first 2 shown]
	ds_read_b128 v[46:49], v181 offset:416
	ds_read_b128 v[50:53], v181 offset:3328
	;; [unrolled: 1-line block ×8, first 2 shown]
	v_cmp_lt_u16_e64 s1, 12, v215
	v_cndmask_b32_e64 v63, 0, 0x75, s1
	v_add_nc_u32_e32 v62, v62, v63
	v_add_lshl_u32 v183, v213, v62, 4
	s_waitcnt vmcnt(7) lgkmcnt(7)
	v_mul_f64 v[84:85], v[48:49], v[22:23]
	v_mul_f64 v[86:87], v[46:47], v[22:23]
	s_waitcnt vmcnt(6) lgkmcnt(6)
	v_mul_f64 v[88:89], v[52:53], v[30:31]
	v_mul_f64 v[90:91], v[50:51], v[30:31]
	s_waitcnt vmcnt(5) lgkmcnt(5)
	v_mul_f64 v[92:93], v[56:57], v[26:27]
	v_mul_f64 v[94:95], v[54:55], v[26:27]
	s_waitcnt vmcnt(4) lgkmcnt(4)
	v_mul_f64 v[96:97], v[60:61], v[42:43]
	v_mul_f64 v[98:99], v[58:59], v[42:43]
	s_waitcnt vmcnt(3) lgkmcnt(3)
	v_mul_f64 v[100:101], v[70:71], v[38:39]
	v_mul_f64 v[102:103], v[68:69], v[38:39]
	s_waitcnt vmcnt(2) lgkmcnt(2)
	v_mul_f64 v[104:105], v[74:75], v[34:35]
	v_mul_f64 v[106:107], v[72:73], v[34:35]
	v_fma_f64 v[84:85], v[46:47], v[20:21], -v[84:85]
	v_fma_f64 v[86:87], v[48:49], v[20:21], v[86:87]
	ds_read_b128 v[46:49], v181
	v_fma_f64 v[50:51], v[50:51], v[28:29], -v[88:89]
	v_fma_f64 v[52:53], v[52:53], v[28:29], v[90:91]
	v_fma_f64 v[54:55], v[54:55], v[24:25], -v[92:93]
	v_fma_f64 v[56:57], v[56:57], v[24:25], v[94:95]
	v_fma_f64 v[58:59], v[58:59], v[40:41], -v[96:97]
	v_fma_f64 v[60:61], v[60:61], v[40:41], v[98:99]
	v_fma_f64 v[68:69], v[68:69], v[36:37], -v[100:101]
	v_fma_f64 v[70:71], v[70:71], v[36:37], v[102:103]
	v_fma_f64 v[72:73], v[72:73], v[32:33], -v[104:105]
	v_fma_f64 v[74:75], v[74:75], v[32:33], v[106:107]
	s_waitcnt vmcnt(1) lgkmcnt(2)
	v_mul_f64 v[88:89], v[78:79], v[18:19]
	v_mul_f64 v[90:91], v[76:77], v[18:19]
	s_waitcnt vmcnt(0) lgkmcnt(1)
	v_mul_f64 v[92:93], v[82:83], v[14:15]
	v_mul_f64 v[94:95], v[80:81], v[14:15]
	s_waitcnt lgkmcnt(0)
	s_barrier
	buffer_gl0_inv
	v_add_f64 v[96:97], v[84:85], -v[50:51]
	v_add_f64 v[98:99], v[86:87], -v[52:53]
	v_add_f64 v[50:51], v[84:85], v[50:51]
	v_add_f64 v[52:53], v[86:87], v[52:53]
	;; [unrolled: 1-line block ×4, first 2 shown]
	v_add_f64 v[100:101], v[54:55], -v[58:59]
	v_add_f64 v[102:103], v[56:57], -v[60:61]
	v_add_f64 v[104:105], v[68:69], v[72:73]
	v_add_f64 v[106:107], v[70:71], v[74:75]
	v_fma_f64 v[76:77], v[76:77], v[16:17], -v[88:89]
	v_fma_f64 v[78:79], v[78:79], v[16:17], v[90:91]
	v_fma_f64 v[80:81], v[80:81], v[12:13], -v[92:93]
	v_fma_f64 v[82:83], v[82:83], v[12:13], v[94:95]
	v_add_f64 v[68:69], v[68:69], -v[72:73]
	v_add_f64 v[70:71], v[70:71], -v[74:75]
	v_mul_f64 v[72:73], v[96:97], s[8:9]
	v_mul_f64 v[74:75], v[98:99], s[8:9]
	v_fma_f64 v[88:89], v[50:51], s[16:17], v[46:47]
	v_fma_f64 v[90:91], v[52:53], s[16:17], v[48:49]
	s_mov_b32 s9, 0xbfe491b7
	v_fma_f64 v[92:93], v[84:85], s[16:17], v[46:47]
	v_fma_f64 v[94:95], v[86:87], s[16:17], v[48:49]
	v_mul_f64 v[108:109], v[100:101], s[10:11]
	v_mul_f64 v[110:111], v[102:103], s[10:11]
	v_fma_f64 v[113:114], v[104:105], s[16:17], v[46:47]
	v_fma_f64 v[115:116], v[106:107], s[16:17], v[48:49]
	v_mul_f64 v[117:118], v[102:103], s[8:9]
	v_mul_f64 v[119:120], v[100:101], s[8:9]
	v_add_f64 v[121:122], v[76:77], v[80:81]
	v_add_f64 v[123:124], v[78:79], v[82:83]
	;; [unrolled: 1-line block ×4, first 2 shown]
	v_add_f64 v[76:77], v[76:77], -v[80:81]
	v_add_f64 v[78:79], v[78:79], -v[82:83]
	s_mov_b32 s16, 0xe8584cab
	s_mov_b32 s17, 0x3febb67a
	v_fma_f64 v[72:73], v[68:69], s[10:11], v[72:73]
	v_fma_f64 v[74:75], v[70:71], s[10:11], v[74:75]
	;; [unrolled: 1-line block ×6, first 2 shown]
	v_fma_f64 v[92:93], v[68:69], s[8:9], -v[108:109]
	v_fma_f64 v[94:95], v[70:71], s[8:9], -v[110:111]
	v_fma_f64 v[108:109], v[84:85], s[18:19], v[113:114]
	v_fma_f64 v[110:111], v[86:87], s[18:19], v[115:116]
	;; [unrolled: 1-line block ×4, first 2 shown]
	v_add_f64 v[117:118], v[100:101], v[96:97]
	v_add_f64 v[119:120], v[102:103], v[98:99]
	;; [unrolled: 1-line block ×8, first 2 shown]
	s_mov_b32 s9, 0xbfebb67a
	s_mov_b32 s8, s16
	v_fma_f64 v[72:73], v[76:77], s[16:17], v[72:73]
	v_fma_f64 v[74:75], v[78:79], s[16:17], v[74:75]
	v_fma_f64 v[80:81], v[121:122], -0.5, v[80:81]
	v_fma_f64 v[82:83], v[123:124], -0.5, v[82:83]
	;; [unrolled: 1-line block ×4, first 2 shown]
	v_fma_f64 v[92:93], v[76:77], s[16:17], v[92:93]
	v_fma_f64 v[94:95], v[78:79], s[16:17], v[94:95]
	v_fma_f64 v[108:109], v[121:122], -0.5, v[108:109]
	v_fma_f64 v[110:111], v[123:124], -0.5, v[110:111]
	v_fma_f64 v[78:79], v[78:79], s[8:9], v[113:114]
	v_fma_f64 v[76:77], v[76:77], s[8:9], v[115:116]
	s_mov_b32 s10, 0x748a0bf8
	s_mov_b32 s18, 0x42522d1b
	;; [unrolled: 1-line block ×4, first 2 shown]
	v_add_f64 v[54:55], v[54:55], v[125:126]
	v_add_f64 v[56:57], v[56:57], v[127:128]
	v_add_f64 v[113:114], v[117:118], -v[68:69]
	v_add_f64 v[115:116], v[119:120], -v[70:71]
	v_fma_f64 v[117:118], v[133:134], -0.5, v[129:130]
	v_fma_f64 v[119:120], v[135:136], -0.5, v[131:132]
	v_fma_f64 v[100:101], v[100:101], s[10:11], v[72:73]
	v_fma_f64 v[102:103], v[102:103], s[10:11], v[74:75]
	;; [unrolled: 1-line block ×12, first 2 shown]
	v_add_f64 v[96:97], v[58:59], v[54:55]
	v_add_f64 v[98:99], v[60:61], v[56:57]
	v_mul_f64 v[76:77], v[113:114], s[16:17]
	v_mul_f64 v[78:79], v[115:116], s[16:17]
	v_fma_f64 v[50:51], v[115:116], s[16:17], v[117:118]
	v_fma_f64 v[52:53], v[113:114], s[8:9], v[119:120]
	v_add_f64 v[54:55], v[102:103], v[72:73]
	v_add_f64 v[56:57], v[74:75], -v[100:101]
	v_add_f64 v[58:59], v[90:91], v[84:85]
	v_add_f64 v[60:61], v[86:87], -v[88:89]
	;; [unrolled: 2-line block ×3, first 2 shown]
	v_add_f64 v[46:47], v[46:47], v[96:97]
	v_add_f64 v[48:49], v[48:49], v[98:99]
	v_fma_f64 v[72:73], v[78:79], -2.0, v[50:51]
	v_fma_f64 v[74:75], v[76:77], 2.0, v[52:53]
	v_fma_f64 v[84:85], v[102:103], -2.0, v[54:55]
	v_fma_f64 v[86:87], v[100:101], 2.0, v[56:57]
	v_fma_f64 v[76:77], v[90:91], -2.0, v[58:59]
	v_fma_f64 v[78:79], v[88:89], 2.0, v[60:61]
	v_fma_f64 v[80:81], v[92:93], -2.0, v[68:69]
	v_fma_f64 v[82:83], v[94:95], 2.0, v[70:71]
	ds_write_b128 v183, v[50:53] offset:624
	ds_write_b128 v183, v[46:49]
	ds_write_b128 v183, v[54:57] offset:208
	ds_write_b128 v183, v[58:61] offset:832
	;; [unrolled: 1-line block ×7, first 2 shown]
	s_waitcnt lgkmcnt(0)
	s_barrier
	buffer_gl0_inv
	ds_read_b128 v[68:71], v181
	ds_read_b128 v[92:95], v181 offset:416
	ds_read_b128 v[76:79], v181 offset:1872
	;; [unrolled: 1-line block ×7, first 2 shown]
	s_and_saveexec_b32 s1, s0
	s_cbranch_execz .LBB0_9
; %bb.8:
	ds_read_b128 v[84:87], v181 offset:1664
	ds_read_b128 v[64:67], v181 offset:3536
	v_add_co_u32 v44, s8, 0x68, v215
	v_add_co_ci_u32_e64 v45, null, 0, 0, s8
.LBB0_9:
	s_or_b32 exec_lo, exec_lo, s1
	v_add_co_u32 v46, s1, s2, v214
	v_add_co_ci_u32_e64 v47, null, s3, 0, s1
	v_lshlrev_b64 v[44:45], 4, v[44:45]
	v_add_co_u32 v46, s1, 0x800, v46
	v_add_co_ci_u32_e64 v47, s1, 0, v47, s1
	v_lshl_add_u32 v182, v215, 4, v216
	v_add_co_u32 v44, s1, s2, v44
	v_add_co_ci_u32_e64 v45, s1, s3, v45, s1
	s_clause 0x4
	global_load_dwordx4 v[56:59], v214, s[2:3] offset:1664
	global_load_dwordx4 v[48:51], v[46:47], off offset:32
	global_load_dwordx4 v[60:63], v[46:47], off offset:448
	;; [unrolled: 1-line block ×4, first 2 shown]
	v_add_nc_u32_e32 v184, v214, v216
	s_waitcnt vmcnt(4) lgkmcnt(5)
	v_mul_f64 v[100:101], v[78:79], v[58:59]
	v_mul_f64 v[102:103], v[76:77], v[58:59]
	s_waitcnt vmcnt(3) lgkmcnt(4)
	v_mul_f64 v[104:105], v[74:75], v[50:51]
	v_mul_f64 v[106:107], v[72:73], v[50:51]
	;; [unrolled: 3-line block ×4, first 2 shown]
	s_waitcnt vmcnt(0)
	v_mul_f64 v[121:122], v[66:67], v[46:47]
	v_mul_f64 v[123:124], v[64:65], v[46:47]
	v_fma_f64 v[76:77], v[76:77], v[56:57], -v[100:101]
	v_fma_f64 v[78:79], v[78:79], v[56:57], v[102:103]
	v_fma_f64 v[72:73], v[72:73], v[48:49], -v[104:105]
	v_fma_f64 v[74:75], v[74:75], v[48:49], v[106:107]
	;; [unrolled: 2-line block ×5, first 2 shown]
	v_add_f64 v[104:105], v[68:69], -v[76:77]
	v_add_f64 v[106:107], v[70:71], -v[78:79]
	v_add_f64 v[88:89], v[92:93], -v[72:73]
	v_add_f64 v[90:91], v[94:95], -v[74:75]
	v_add_f64 v[80:81], v[96:97], -v[100:101]
	v_add_f64 v[82:83], v[98:99], -v[102:103]
	v_add_f64 v[76:77], v[108:109], -v[113:114]
	v_add_f64 v[78:79], v[110:111], -v[115:116]
	v_add_f64 v[72:73], v[84:85], -v[64:65]
	v_add_f64 v[74:75], v[86:87], -v[66:67]
	v_fma_f64 v[68:69], v[68:69], 2.0, -v[104:105]
	v_fma_f64 v[70:71], v[70:71], 2.0, -v[106:107]
	;; [unrolled: 1-line block ×10, first 2 shown]
	ds_write_b128 v182, v[104:107] offset:1872
	ds_write_b128 v182, v[88:91] offset:2288
	ds_write_b128 v182, v[68:71]
	ds_write_b128 v182, v[100:103] offset:416
	ds_write_b128 v182, v[96:99] offset:832
	;; [unrolled: 1-line block ×5, first 2 shown]
	s_and_saveexec_b32 s1, s0
	s_cbranch_execz .LBB0_11
; %bb.10:
	ds_write_b128 v182, v[84:87] offset:1664
	ds_write_b128 v182, v[72:75] offset:3536
.LBB0_11:
	s_or_b32 exec_lo, exec_lo, s1
	s_waitcnt lgkmcnt(0)
	s_barrier
	buffer_gl0_inv
	s_and_saveexec_b32 s2, vcc_lo
	s_cbranch_execz .LBB0_13
; %bb.12:
	v_add_co_u32 v135, s1, s14, v214
	v_add_co_ci_u32_e64 v136, null, s15, 0, s1
	v_add_co_u32 v64, s1, 0x800, v135
	v_add_co_ci_u32_e64 v65, s1, 0, v136, s1
	v_add_co_u32 v133, s1, 0xea0, v135
	v_add_co_ci_u32_e64 v134, s1, 0, v136, s1
	v_add_co_u32 v137, s1, 0x1000, v135
	s_clause 0x6
	global_load_dwordx4 v[64:67], v[64:65], off offset:1696
	global_load_dwordx4 v[108:111], v[133:134], off offset:288
	;; [unrolled: 1-line block ×7, first 2 shown]
	v_add_co_ci_u32_e64 v138, s1, 0, v136, s1
	v_add_co_u32 v153, s1, 0x1800, v135
	v_add_co_ci_u32_e64 v154, s1, 0, v136, s1
	s_clause 0x5
	global_load_dwordx4 v[133:136], v[133:134], off offset:2016
	global_load_dwordx4 v[137:140], v[137:138], off offset:1952
	global_load_dwordx4 v[141:144], v[153:154], off offset:192
	global_load_dwordx4 v[145:148], v[153:154], off offset:480
	global_load_dwordx4 v[149:152], v[153:154], off offset:768
	global_load_dwordx4 v[153:156], v[153:154], off offset:1056
	ds_read_b128 v[157:160], v182
	ds_read_b128 v[161:164], v182 offset:288
	ds_read_b128 v[165:168], v182 offset:576
	;; [unrolled: 1-line block ×12, first 2 shown]
	s_waitcnt vmcnt(12) lgkmcnt(12)
	v_mul_f64 v[218:219], v[159:160], v[66:67]
	v_mul_f64 v[66:67], v[157:158], v[66:67]
	s_waitcnt vmcnt(11) lgkmcnt(11)
	v_mul_f64 v[220:221], v[163:164], v[110:111]
	v_mul_f64 v[110:111], v[161:162], v[110:111]
	;; [unrolled: 3-line block ×13, first 2 shown]
	v_fma_f64 v[155:156], v[157:158], v[64:65], -v[218:219]
	v_fma_f64 v[157:158], v[159:160], v[64:65], v[66:67]
	v_fma_f64 v[64:65], v[161:162], v[108:109], -v[220:221]
	v_fma_f64 v[66:67], v[163:164], v[108:109], v[110:111]
	;; [unrolled: 2-line block ×13, first 2 shown]
	ds_write_b128 v182, v[155:158]
	ds_write_b128 v182, v[64:67] offset:288
	ds_write_b128 v182, v[108:111] offset:576
	;; [unrolled: 1-line block ×12, first 2 shown]
.LBB0_13:
	s_or_b32 exec_lo, exec_lo, s2
	s_waitcnt lgkmcnt(0)
	s_barrier
	buffer_gl0_inv
	s_and_saveexec_b32 s1, vcc_lo
	s_cbranch_execz .LBB0_15
; %bb.14:
	ds_read_b128 v[68:71], v182
	ds_read_b128 v[104:107], v182 offset:288
	ds_read_b128 v[100:103], v182 offset:576
	;; [unrolled: 1-line block ×12, first 2 shown]
.LBB0_15:
	s_or_b32 exec_lo, exec_lo, s1
	s_waitcnt lgkmcnt(0)
	v_add_f64 v[171:172], v[106:107], -v[2:3]
	v_add_f64 v[173:174], v[106:107], v[2:3]
	s_mov_b32 s2, 0xb2365da1
	s_mov_b32 s3, 0xbfd6b1d8
	v_add_f64 v[169:170], v[104:105], v[0:1]
	v_add_f64 v[175:176], v[104:105], -v[0:1]
	v_add_f64 v[131:132], v[102:103], -v[6:7]
	v_add_f64 v[108:109], v[102:103], v[6:7]
	s_mov_b32 s8, 0xd0032e0c
	s_mov_b32 s20, 0x24c2f84
	;; [unrolled: 1-line block ×4, first 2 shown]
	v_add_f64 v[110:111], v[100:101], v[4:5]
	v_add_f64 v[127:128], v[100:101], -v[4:5]
	v_add_f64 v[137:138], v[90:91], -v[10:11]
	v_add_f64 v[113:114], v[90:91], v[10:11]
	s_mov_b32 s10, 0xe00740e9
	s_mov_b32 s11, 0x3fec55a7
	;; [unrolled: 1-line block ×4, first 2 shown]
	v_add_f64 v[115:116], v[88:89], v[8:9]
	v_add_f64 v[145:146], v[88:89], -v[8:9]
	v_mul_f64 v[177:178], v[171:172], s[22:23]
	v_mul_f64 v[179:180], v[173:174], s[2:3]
	v_add_f64 v[117:118], v[98:99], v[74:75]
	v_add_f64 v[159:160], v[98:99], -v[74:75]
	s_mov_b32 s16, 0xebaa3ed8
	s_mov_b32 s26, 0x66966769
	v_mul_f64 v[133:134], v[131:132], s[20:21]
	v_mul_f64 v[135:136], v[108:109], s[8:9]
	s_mov_b32 s17, 0x3fbedb7d
	s_mov_b32 s27, 0xbfefc445
	v_add_f64 v[119:120], v[96:97], v[72:73]
	v_add_f64 v[143:144], v[96:97], -v[72:73]
	v_add_f64 v[121:122], v[82:83], v[86:87]
	v_add_f64 v[153:154], v[82:83], -v[86:87]
	v_mul_f64 v[139:140], v[137:138], s[34:35]
	v_mul_f64 v[141:142], v[113:114], s[10:11]
	s_mov_b32 s18, 0x93053d00
	s_mov_b32 s28, 0x4bc48dbf
	;; [unrolled: 1-line block ×4, first 2 shown]
	v_add_f64 v[151:152], v[80:81], -v[84:85]
	v_add_f64 v[165:166], v[94:95], -v[78:79]
	v_fma_f64 v[64:65], v[169:170], s[2:3], -v[177:178]
	v_fma_f64 v[66:67], v[175:176], s[22:23], v[179:180]
	v_mul_f64 v[149:150], v[117:118], s[16:17]
	v_mul_f64 v[147:148], v[159:160], s[26:27]
	s_mov_b32 s24, 0x1ea71119
	s_mov_b32 s31, 0x3fea55e2
	v_fma_f64 v[123:124], v[110:111], s[8:9], -v[133:134]
	v_fma_f64 v[125:126], v[127:128], s[20:21], v[135:136]
	s_mov_b32 s30, 0x42a4c3d2
	s_mov_b32 s25, 0x3fe22d96
	v_add_f64 v[167:168], v[92:93], -v[76:77]
	v_mul_f64 v[157:158], v[121:122], s[18:19]
	v_mul_f64 v[155:156], v[153:154], s[28:29]
	v_fma_f64 v[129:130], v[115:116], s[10:11], -v[139:140]
	v_fma_f64 v[161:162], v[145:146], s[34:35], v[141:142]
	s_barrier
	buffer_gl0_inv
	v_add_f64 v[64:65], v[68:69], v[64:65]
	v_add_f64 v[66:67], v[70:71], v[66:67]
	v_fma_f64 v[187:188], v[143:144], s[26:27], v[149:150]
	v_fma_f64 v[185:186], v[119:120], s[16:17], -v[147:148]
	v_fma_f64 v[191:192], v[151:152], s[28:29], v[157:158]
	v_add_f64 v[64:65], v[123:124], v[64:65]
	v_add_f64 v[66:67], v[125:126], v[66:67]
	;; [unrolled: 1-line block ×7, first 2 shown]
	v_mul_f64 v[161:162], v[165:166], s[30:31]
	v_mul_f64 v[163:164], v[125:126], s[24:25]
	v_fma_f64 v[189:190], v[123:124], s[18:19], -v[155:156]
	v_add_f64 v[64:65], v[185:186], v[64:65]
	v_add_f64 v[66:67], v[187:188], v[66:67]
	v_fma_f64 v[185:186], v[129:130], s[24:25], -v[161:162]
	v_fma_f64 v[187:188], v[167:168], s[30:31], v[163:164]
	v_add_f64 v[64:65], v[189:190], v[64:65]
	v_add_f64 v[66:67], v[191:192], v[66:67]
	;; [unrolled: 1-line block ×4, first 2 shown]
	s_and_saveexec_b32 s1, vcc_lo
	s_cbranch_execz .LBB0_17
; %bb.16:
	v_add_f64 v[106:107], v[70:71], v[106:107]
	v_add_f64 v[104:105], v[68:69], v[104:105]
	s_mov_b32 s39, 0xbfcea1e5
	s_mov_b32 s38, s28
	s_mov_b32 s37, 0xbfe5384d
	s_mov_b32 s36, s20
	v_mul_f64 v[207:208], v[167:168], s[22:23]
	v_mul_f64 v[185:186], v[171:172], s[36:37]
	;; [unrolled: 1-line block ×15, first 2 shown]
	v_add_f64 v[102:103], v[106:107], v[102:103]
	v_add_f64 v[100:101], v[104:105], v[100:101]
	v_fma_f64 v[193:194], v[169:170], s[8:9], -v[185:186]
	v_fma_f64 v[185:186], v[169:170], s[8:9], v[185:186]
	v_add_f64 v[90:91], v[102:103], v[90:91]
	v_add_f64 v[88:89], v[100:101], v[88:89]
	;; [unrolled: 1-line block ×5, first 2 shown]
	v_mul_f64 v[96:97], v[167:168], s[34:35]
	v_mul_f64 v[98:99], v[165:166], s[34:35]
	v_add_f64 v[82:83], v[90:91], v[82:83]
	v_add_f64 v[80:81], v[88:89], v[80:81]
	v_mul_f64 v[88:89], v[151:152], s[34:35]
	v_mul_f64 v[90:91], v[153:154], s[34:35]
	v_add_f64 v[82:83], v[82:83], v[94:95]
	v_add_f64 v[80:81], v[80:81], v[92:93]
	;; [unrolled: 4-line block ×3, first 2 shown]
	v_mul_f64 v[80:81], v[175:176], s[36:37]
	v_add_f64 v[78:79], v[78:79], v[86:87]
	v_add_f64 v[76:77], v[76:77], v[84:85]
	v_mul_f64 v[84:85], v[167:168], s[30:31]
	v_mul_f64 v[86:87], v[145:146], s[34:35]
	v_fma_f64 v[106:107], v[173:174], s[8:9], v[80:81]
	v_fma_f64 v[80:81], v[173:174], s[8:9], -v[80:81]
	v_add_f64 v[74:75], v[78:79], v[74:75]
	v_add_f64 v[72:73], v[76:77], v[72:73]
	v_mul_f64 v[76:77], v[175:176], s[26:27]
	v_mul_f64 v[78:79], v[175:176], s[38:39]
	v_add_f64 v[86:87], v[141:142], -v[86:87]
	v_add_f64 v[84:85], v[163:164], -v[84:85]
	v_add_f64 v[10:11], v[74:75], v[10:11]
	v_add_f64 v[8:9], v[72:73], v[8:9]
	v_mul_f64 v[72:73], v[127:128], s[34:35]
	v_mul_f64 v[74:75], v[131:132], s[34:35]
	s_mov_b32 s35, 0xbfddbe06
	v_fma_f64 v[102:103], v[173:174], s[16:17], v[76:77]
	v_mul_f64 v[100:101], v[175:176], s[34:35]
	v_fma_f64 v[76:77], v[173:174], s[16:17], -v[76:77]
	v_fma_f64 v[104:105], v[173:174], s[18:19], v[78:79]
	v_fma_f64 v[78:79], v[173:174], s[18:19], -v[78:79]
	v_add_f64 v[6:7], v[10:11], v[6:7]
	v_add_f64 v[4:5], v[8:9], v[4:5]
	v_mul_f64 v[8:9], v[143:144], s[30:31]
	v_mul_f64 v[10:11], v[159:160], s[30:31]
	s_mov_b32 s31, 0xbfea55e2
	v_add_f64 v[102:103], v[70:71], v[102:103]
	v_mul_f64 v[82:83], v[175:176], s[30:31]
	v_mul_f64 v[187:188], v[171:172], s[30:31]
	v_add_f64 v[201:202], v[70:71], v[76:77]
	v_add_f64 v[76:77], v[70:71], v[78:79]
	v_mul_f64 v[211:212], v[127:128], s[30:31]
	v_add_f64 v[2:3], v[6:7], v[2:3]
	v_add_f64 v[0:1], v[4:5], v[0:1]
	v_mul_f64 v[4:5], v[175:176], s[22:23]
	v_mul_f64 v[6:7], v[169:170], s[2:3]
	v_fma_f64 v[175:176], v[173:174], s[24:25], -v[82:83]
	v_fma_f64 v[82:83], v[173:174], s[24:25], v[82:83]
	v_fma_f64 v[195:196], v[169:170], s[24:25], v[187:188]
	v_fma_f64 v[187:188], v[169:170], s[24:25], -v[187:188]
	v_add_f64 v[4:5], v[179:180], -v[4:5]
	v_add_f64 v[6:7], v[6:7], v[177:178]
	v_fma_f64 v[177:178], v[173:174], s[10:11], -v[100:101]
	v_fma_f64 v[100:101], v[173:174], s[10:11], v[100:101]
	v_mul_f64 v[173:174], v[171:172], s[26:27]
	v_mul_f64 v[179:180], v[171:172], s[38:39]
	;; [unrolled: 1-line block ×3, first 2 shown]
	v_add_f64 v[187:188], v[68:69], v[187:188]
	s_mov_b32 s35, 0x3fefc445
	s_mov_b32 s34, s26
	v_mul_f64 v[203:204], v[167:168], s[34:35]
	v_mul_f64 v[205:206], v[165:166], s[34:35]
	v_mul_f64 v[240:241], v[151:152], s[34:35]
	v_mul_f64 v[242:243], v[153:154], s[34:35]
	v_mul_f64 v[167:168], v[167:168], s[36:37]
	v_mul_f64 v[165:166], v[165:166], s[36:37]
	v_add_f64 v[199:200], v[68:69], v[6:7]
	v_add_f64 v[100:101], v[70:71], v[100:101]
	v_fma_f64 v[189:190], v[169:170], s[16:17], -v[173:174]
	v_fma_f64 v[173:174], v[169:170], s[16:17], v[173:174]
	v_fma_f64 v[191:192], v[169:170], s[18:19], -v[179:180]
	v_fma_f64 v[179:180], v[169:170], s[18:19], v[179:180]
	v_fma_f64 v[197:198], v[169:170], s[10:11], v[171:172]
	v_fma_f64 v[169:170], v[169:170], s[10:11], -v[171:172]
	v_add_f64 v[171:172], v[70:71], v[4:5]
	v_add_f64 v[4:5], v[70:71], v[104:105]
	;; [unrolled: 1-line block ×15, first 2 shown]
	v_fma_f64 v[68:69], v[108:109], s[10:11], v[72:73]
	v_fma_f64 v[72:73], v[108:109], s[10:11], -v[72:73]
	v_add_f64 v[4:5], v[68:69], v[4:5]
	v_fma_f64 v[68:69], v[110:111], s[10:11], -v[74:75]
	v_add_f64 v[72:73], v[72:73], v[76:77]
	v_fma_f64 v[74:75], v[110:111], s[10:11], v[74:75]
	v_add_f64 v[6:7], v[68:69], v[6:7]
	v_mul_f64 v[68:69], v[145:146], s[36:37]
	v_add_f64 v[74:75], v[74:75], v[78:79]
	v_fma_f64 v[78:79], v[110:111], s[2:3], v[234:235]
	v_fma_f64 v[70:71], v[113:114], s[8:9], v[68:69]
	v_fma_f64 v[68:69], v[113:114], s[8:9], -v[68:69]
	v_add_f64 v[78:79], v[78:79], v[191:192]
	v_mul_f64 v[191:192], v[145:146], s[38:39]
	v_add_f64 v[4:5], v[70:71], v[4:5]
	v_mul_f64 v[70:71], v[137:138], s[36:37]
	v_add_f64 v[68:69], v[68:69], v[72:73]
	v_fma_f64 v[82:83], v[115:116], s[8:9], -v[70:71]
	v_fma_f64 v[70:71], v[115:116], s[8:9], v[70:71]
	v_add_f64 v[6:7], v[82:83], v[6:7]
	v_fma_f64 v[82:83], v[117:118], s[24:25], v[8:9]
	v_fma_f64 v[8:9], v[117:118], s[24:25], -v[8:9]
	v_add_f64 v[70:71], v[70:71], v[74:75]
	v_add_f64 v[4:5], v[82:83], v[4:5]
	v_fma_f64 v[82:83], v[119:120], s[24:25], -v[10:11]
	v_add_f64 v[8:9], v[8:9], v[68:69]
	v_fma_f64 v[10:11], v[119:120], s[24:25], v[10:11]
	v_add_f64 v[6:7], v[82:83], v[6:7]
	v_mul_f64 v[82:83], v[151:152], s[22:23]
	v_add_f64 v[10:11], v[10:11], v[70:71]
	v_fma_f64 v[70:71], v[129:130], s[16:17], v[205:206]
	v_fma_f64 v[195:196], v[121:122], s[2:3], v[82:83]
	v_fma_f64 v[68:69], v[121:122], s[2:3], -v[82:83]
	v_add_f64 v[4:5], v[195:196], v[4:5]
	v_mul_f64 v[195:196], v[153:154], s[22:23]
	v_add_f64 v[8:9], v[68:69], v[8:9]
	s_mov_b32 s23, 0x3fedeba7
	v_mul_f64 v[153:154], v[153:154], s[30:31]
	v_fma_f64 v[68:69], v[123:124], s[2:3], v[195:196]
	v_fma_f64 v[197:198], v[123:124], s[2:3], -v[195:196]
	v_mul_f64 v[195:196], v[127:128], s[34:35]
	v_mul_f64 v[127:128], v[127:128], s[20:21]
	v_add_f64 v[68:69], v[68:69], v[10:11]
	v_fma_f64 v[10:11], v[125:126], s[16:17], -v[203:204]
	v_add_f64 v[197:198], v[197:198], v[6:7]
	v_fma_f64 v[6:7], v[125:126], s[16:17], v[203:204]
	v_mul_f64 v[203:204], v[143:144], s[28:29]
	v_add_f64 v[127:128], v[135:136], -v[127:128]
	v_mul_f64 v[135:136], v[110:111], s[8:9]
	v_add_f64 v[10:11], v[10:11], v[8:9]
	v_add_f64 v[8:9], v[70:71], v[68:69]
	v_fma_f64 v[68:69], v[108:109], s[16:17], v[195:196]
	v_add_f64 v[6:7], v[6:7], v[4:5]
	v_fma_f64 v[4:5], v[129:130], s[16:17], -v[205:206]
	v_mul_f64 v[205:206], v[159:160], s[28:29]
	v_add_f64 v[133:134], v[135:136], v[133:134]
	v_mul_f64 v[135:136], v[115:116], s[10:11]
	v_add_f64 v[127:128], v[127:128], v[171:172]
	;; [unrolled: 2-line block ×5, first 2 shown]
	v_add_f64 v[135:136], v[135:136], v[139:140]
	v_mul_f64 v[139:140], v[143:144], s[26:27]
	v_add_f64 v[86:87], v[86:87], v[127:128]
	v_mul_f64 v[127:128], v[119:120], s[16:17]
	v_mul_f64 v[137:138], v[137:138], s[22:23]
	v_fma_f64 v[70:71], v[110:111], s[16:17], -v[104:105]
	v_fma_f64 v[104:105], v[110:111], s[16:17], v[104:105]
	v_add_f64 v[133:134], v[135:136], v[133:134]
	v_add_f64 v[139:140], v[149:150], -v[139:140]
	v_mul_f64 v[135:136], v[151:152], s[28:29]
	v_add_f64 v[127:128], v[127:128], v[147:148]
	v_add_f64 v[70:71], v[70:71], v[106:107]
	v_mul_f64 v[106:107], v[145:146], s[30:31]
	v_add_f64 v[104:105], v[104:105], v[185:186]
	v_add_f64 v[86:87], v[139:140], v[86:87]
	v_mul_f64 v[139:140], v[123:124], s[18:19]
	v_add_f64 v[135:136], v[157:158], -v[135:136]
	v_add_f64 v[127:128], v[127:128], v[133:134]
	v_mul_f64 v[133:134], v[129:130], s[24:25]
	v_fma_f64 v[72:73], v[113:114], s[24:25], v[106:107]
	v_fma_f64 v[106:107], v[113:114], s[24:25], -v[106:107]
	v_add_f64 v[139:140], v[139:140], v[155:156]
	v_add_f64 v[86:87], v[135:136], v[86:87]
	;; [unrolled: 1-line block ×4, first 2 shown]
	v_fma_f64 v[72:73], v[115:116], s[24:25], -v[197:198]
	v_add_f64 v[127:128], v[139:140], v[127:128]
	v_add_f64 v[86:87], v[84:85], v[86:87]
	;; [unrolled: 1-line block ×3, first 2 shown]
	v_fma_f64 v[72:73], v[117:118], s[18:19], v[203:204]
	v_add_f64 v[84:85], v[133:134], v[127:128]
	v_fma_f64 v[127:128], v[108:109], s[16:17], -v[195:196]
	v_add_f64 v[68:69], v[72:73], v[68:69]
	v_fma_f64 v[72:73], v[119:120], s[18:19], -v[205:206]
	v_add_f64 v[127:128], v[127:128], v[179:180]
	v_add_f64 v[70:71], v[72:73], v[70:71]
	v_fma_f64 v[72:73], v[121:122], s[10:11], v[88:89]
	v_fma_f64 v[88:89], v[121:122], s[10:11], -v[88:89]
	v_add_f64 v[106:107], v[106:107], v[127:128]
	v_fma_f64 v[127:128], v[115:116], s[24:25], v[197:198]
	v_add_f64 v[68:69], v[72:73], v[68:69]
	v_fma_f64 v[72:73], v[123:124], s[10:11], -v[90:91]
	v_fma_f64 v[90:91], v[123:124], s[10:11], v[90:91]
	v_add_f64 v[104:105], v[127:128], v[104:105]
	v_fma_f64 v[127:128], v[117:118], s[18:19], -v[203:204]
	v_add_f64 v[72:73], v[72:73], v[70:71]
	v_fma_f64 v[70:71], v[125:126], s[2:3], v[207:208]
	v_add_f64 v[106:107], v[127:128], v[106:107]
	v_fma_f64 v[127:128], v[119:120], s[18:19], v[205:206]
	v_add_f64 v[70:71], v[70:71], v[68:69]
	v_fma_f64 v[68:69], v[129:130], s[2:3], -v[209:210]
	v_add_f64 v[88:89], v[88:89], v[106:107]
	v_add_f64 v[104:105], v[127:128], v[104:105]
	v_fma_f64 v[106:107], v[129:130], s[2:3], v[209:210]
	v_add_f64 v[68:69], v[68:69], v[72:73]
	v_fma_f64 v[72:73], v[108:109], s[24:25], -v[211:212]
	v_add_f64 v[104:105], v[90:91], v[104:105]
	v_fma_f64 v[90:91], v[125:126], s[2:3], -v[207:208]
	v_add_f64 v[72:73], v[72:73], v[175:176]
	v_mul_f64 v[175:176], v[131:132], s[30:31]
	v_mul_f64 v[131:132], v[131:132], s[38:39]
	v_add_f64 v[90:91], v[90:91], v[88:89]
	v_add_f64 v[88:89], v[106:107], v[104:105]
	v_fma_f64 v[104:105], v[108:109], s[18:19], v[244:245]
	v_fma_f64 v[74:75], v[110:111], s[24:25], v[175:176]
	v_add_f64 v[102:103], v[104:105], v[102:103]
	v_fma_f64 v[104:105], v[110:111], s[18:19], -v[131:132]
	v_add_f64 v[74:75], v[74:75], v[177:178]
	v_mul_f64 v[177:178], v[145:146], s[26:27]
	v_mul_f64 v[145:146], v[145:146], s[22:23]
	v_add_f64 v[104:105], v[104:105], v[189:190]
	v_fma_f64 v[76:77], v[113:114], s[16:17], -v[177:178]
	v_fma_f64 v[82:83], v[113:114], s[2:3], -v[145:146]
	v_fma_f64 v[106:107], v[113:114], s[2:3], v[145:146]
	v_add_f64 v[72:73], v[76:77], v[72:73]
	v_fma_f64 v[76:77], v[115:116], s[16:17], v[218:219]
	v_add_f64 v[102:103], v[106:107], v[102:103]
	v_fma_f64 v[106:107], v[115:116], s[2:3], -v[137:138]
	v_add_f64 v[74:75], v[76:77], v[74:75]
	v_fma_f64 v[76:77], v[117:118], s[2:3], -v[220:221]
	v_add_f64 v[104:105], v[106:107], v[104:105]
	v_fma_f64 v[106:107], v[113:114], s[18:19], v[191:192]
	v_add_f64 v[72:73], v[76:77], v[72:73]
	v_fma_f64 v[76:77], v[119:120], s[2:3], v[222:223]
	v_add_f64 v[74:75], v[76:77], v[74:75]
	v_fma_f64 v[76:77], v[121:122], s[8:9], -v[224:225]
	v_add_f64 v[72:73], v[76:77], v[72:73]
	v_fma_f64 v[76:77], v[123:124], s[8:9], v[226:227]
	v_add_f64 v[76:77], v[76:77], v[74:75]
	v_fma_f64 v[74:75], v[125:126], s[18:19], -v[228:229]
	;; [unrolled: 4-line block ×3, first 2 shown]
	v_add_f64 v[76:77], v[76:77], v[80:81]
	v_fma_f64 v[80:81], v[113:114], s[18:19], -v[191:192]
	v_add_f64 v[76:77], v[80:81], v[76:77]
	v_fma_f64 v[80:81], v[115:116], s[18:19], v[236:237]
	v_add_f64 v[78:79], v[80:81], v[78:79]
	v_fma_f64 v[80:81], v[117:118], s[8:9], -v[238:239]
	v_add_f64 v[76:77], v[80:81], v[76:77]
	v_fma_f64 v[80:81], v[119:120], s[8:9], v[159:160]
	;; [unrolled: 4-line block ×3, first 2 shown]
	v_add_f64 v[80:81], v[80:81], v[78:79]
	v_fma_f64 v[78:79], v[125:126], s[10:11], -v[96:97]
	v_fma_f64 v[96:97], v[125:126], s[10:11], v[96:97]
	v_add_f64 v[78:79], v[78:79], v[76:77]
	v_fma_f64 v[76:77], v[129:130], s[10:11], v[98:99]
	v_add_f64 v[76:77], v[76:77], v[80:81]
	v_fma_f64 v[80:81], v[108:109], s[18:19], -v[244:245]
	v_add_f64 v[80:81], v[80:81], v[201:202]
	v_add_f64 v[80:81], v[82:83], v[80:81]
	v_fma_f64 v[82:83], v[117:118], s[10:11], -v[92:93]
	v_fma_f64 v[92:93], v[117:118], s[10:11], v[92:93]
	v_add_f64 v[80:81], v[82:83], v[80:81]
	v_fma_f64 v[82:83], v[110:111], s[18:19], v[131:132]
	v_add_f64 v[92:93], v[92:93], v[102:103]
	v_add_f64 v[82:83], v[82:83], v[173:174]
	v_fma_f64 v[173:174], v[115:116], s[2:3], v[137:138]
	v_add_f64 v[82:83], v[173:174], v[82:83]
	v_fma_f64 v[173:174], v[119:120], s[10:11], v[94:95]
	v_fma_f64 v[94:95], v[119:120], s[10:11], -v[94:95]
	v_add_f64 v[82:83], v[173:174], v[82:83]
	v_mul_f64 v[173:174], v[151:152], s[30:31]
	v_add_f64 v[94:95], v[94:95], v[104:105]
	v_fma_f64 v[104:105], v[129:130], s[8:9], -v[165:166]
	v_fma_f64 v[102:103], v[121:122], s[24:25], v[173:174]
	v_fma_f64 v[201:202], v[121:122], s[24:25], -v[173:174]
	v_add_f64 v[92:93], v[102:103], v[92:93]
	v_fma_f64 v[102:103], v[123:124], s[24:25], -v[153:154]
	v_add_f64 v[80:81], v[201:202], v[80:81]
	v_fma_f64 v[201:202], v[123:124], s[24:25], v[153:154]
	v_add_f64 v[102:103], v[102:103], v[94:95]
	v_fma_f64 v[94:95], v[125:126], s[8:9], v[167:168]
	v_add_f64 v[201:202], v[201:202], v[82:83]
	v_fma_f64 v[82:83], v[125:126], s[8:9], -v[167:168]
	v_add_f64 v[94:95], v[94:95], v[92:93]
	v_add_f64 v[92:93], v[104:105], v[102:103]
	v_fma_f64 v[102:103], v[108:109], s[2:3], v[232:233]
	v_fma_f64 v[104:105], v[110:111], s[2:3], -v[234:235]
	v_add_f64 v[82:83], v[82:83], v[80:81]
	v_fma_f64 v[80:81], v[129:130], s[8:9], v[165:166]
	v_add_f64 v[102:103], v[102:103], v[193:194]
	v_add_f64 v[104:105], v[104:105], v[187:188]
	;; [unrolled: 1-line block ×4, first 2 shown]
	v_fma_f64 v[106:107], v[115:116], s[18:19], -v[236:237]
	v_add_f64 v[104:105], v[106:107], v[104:105]
	v_fma_f64 v[106:107], v[117:118], s[8:9], v[238:239]
	v_add_f64 v[102:103], v[106:107], v[102:103]
	v_fma_f64 v[106:107], v[119:120], s[8:9], -v[159:160]
	v_add_f64 v[104:105], v[106:107], v[104:105]
	v_fma_f64 v[106:107], v[121:122], s[16:17], v[240:241]
	v_add_f64 v[102:103], v[106:107], v[102:103]
	v_fma_f64 v[106:107], v[123:124], s[16:17], -v[242:243]
	v_add_f64 v[104:105], v[106:107], v[104:105]
	v_fma_f64 v[106:107], v[129:130], s[10:11], -v[98:99]
	v_add_f64 v[98:99], v[96:97], v[102:103]
	v_fma_f64 v[102:103], v[108:109], s[24:25], v[211:212]
	v_fma_f64 v[108:109], v[117:118], s[2:3], v[220:221]
	v_add_f64 v[96:97], v[106:107], v[104:105]
	v_fma_f64 v[104:105], v[110:111], s[24:25], -v[175:176]
	v_fma_f64 v[106:107], v[113:114], s[16:17], v[177:178]
	v_add_f64 v[100:101], v[102:103], v[100:101]
	v_fma_f64 v[102:103], v[115:116], s[16:17], -v[218:219]
	v_add_f64 v[104:105], v[104:105], v[169:170]
	v_add_f64 v[100:101], v[106:107], v[100:101]
	v_fma_f64 v[106:107], v[119:120], s[2:3], -v[222:223]
	v_add_f64 v[102:103], v[102:103], v[104:105]
	v_fma_f64 v[104:105], v[121:122], s[8:9], v[224:225]
	v_add_f64 v[100:101], v[108:109], v[100:101]
	v_fma_f64 v[108:109], v[123:124], s[8:9], -v[226:227]
	v_add_f64 v[102:103], v[106:107], v[102:103]
	v_fma_f64 v[106:107], v[125:126], s[18:19], v[228:229]
	v_add_f64 v[100:101], v[104:105], v[100:101]
	v_fma_f64 v[104:105], v[129:130], s[18:19], -v[230:231]
	v_add_f64 v[108:109], v[108:109], v[102:103]
	v_add_f64 v[102:103], v[106:107], v[100:101]
	;; [unrolled: 1-line block ×3, first 2 shown]
	v_and_b32_e32 v104, 0xffff, v217
	v_lshl_add_u32 v104, v104, 4, v216
	ds_write_b128 v104, v[0:3]
	ds_write_b128 v104, v[72:75] offset:16
	ds_write_b128 v104, v[76:79] offset:32
	;; [unrolled: 1-line block ×12, first 2 shown]
.LBB0_17:
	s_or_b32 exec_lo, exec_lo, s1
	s_waitcnt lgkmcnt(0)
	s_barrier
	buffer_gl0_inv
	ds_read_b128 v[0:3], v181 offset:416
	ds_read_b128 v[4:7], v181 offset:3328
	;; [unrolled: 1-line block ×8, first 2 shown]
	s_mov_b32 s8, 0x8c811c17
	s_mov_b32 s10, 0xa2cf5039
	;; [unrolled: 1-line block ×8, first 2 shown]
	s_waitcnt lgkmcnt(7)
	v_mul_f64 v[88:89], v[22:23], v[2:3]
	v_mul_f64 v[22:23], v[22:23], v[0:1]
	s_waitcnt lgkmcnt(6)
	v_mul_f64 v[90:91], v[30:31], v[6:7]
	v_mul_f64 v[30:31], v[30:31], v[4:5]
	;; [unrolled: 3-line block ×6, first 2 shown]
	v_fma_f64 v[88:89], v[20:21], v[0:1], v[88:89]
	v_fma_f64 v[20:21], v[20:21], v[2:3], -v[22:23]
	ds_read_b128 v[0:3], v181
	v_fma_f64 v[4:5], v[28:29], v[4:5], v[90:91]
	v_fma_f64 v[6:7], v[28:29], v[6:7], -v[30:31]
	v_fma_f64 v[8:9], v[24:25], v[8:9], v[92:93]
	v_fma_f64 v[10:11], v[24:25], v[10:11], -v[26:27]
	;; [unrolled: 2-line block ×5, first 2 shown]
	s_waitcnt lgkmcnt(2)
	v_mul_f64 v[34:35], v[18:19], v[82:83]
	v_mul_f64 v[18:19], v[18:19], v[80:81]
	s_waitcnt lgkmcnt(1)
	v_mul_f64 v[36:37], v[14:15], v[86:87]
	v_mul_f64 v[14:15], v[14:15], v[84:85]
	s_waitcnt lgkmcnt(0)
	s_barrier
	buffer_gl0_inv
	v_add_f64 v[38:39], v[88:89], -v[4:5]
	v_add_f64 v[40:41], v[20:21], -v[6:7]
	v_add_f64 v[4:5], v[88:89], v[4:5]
	v_add_f64 v[6:7], v[20:21], v[6:7]
	;; [unrolled: 1-line block ×4, first 2 shown]
	v_add_f64 v[68:69], v[8:9], -v[22:23]
	v_add_f64 v[70:71], v[10:11], -v[24:25]
	v_add_f64 v[72:73], v[26:27], v[30:31]
	v_add_f64 v[74:75], v[28:29], v[32:33]
	v_fma_f64 v[34:35], v[16:17], v[80:81], v[34:35]
	v_fma_f64 v[16:17], v[16:17], v[82:83], -v[18:19]
	v_fma_f64 v[18:19], v[12:13], v[84:85], v[36:37]
	v_fma_f64 v[12:13], v[12:13], v[86:87], -v[14:15]
	v_add_f64 v[14:15], v[26:27], -v[30:31]
	v_add_f64 v[26:27], v[28:29], -v[32:33]
	v_mul_f64 v[28:29], v[38:39], s[2:3]
	v_mul_f64 v[30:31], v[40:41], s[2:3]
	v_fma_f64 v[32:33], v[4:5], s[10:11], v[0:1]
	v_fma_f64 v[36:37], v[6:7], s[10:11], v[2:3]
	s_mov_b32 s3, 0xbfe491b7
	v_fma_f64 v[76:77], v[20:21], s[10:11], v[0:1]
	v_fma_f64 v[78:79], v[42:43], s[10:11], v[2:3]
	v_mul_f64 v[80:81], v[68:69], s[8:9]
	v_mul_f64 v[82:83], v[70:71], s[8:9]
	v_fma_f64 v[84:85], v[72:73], s[10:11], v[0:1]
	v_fma_f64 v[86:87], v[74:75], s[10:11], v[2:3]
	v_mul_f64 v[88:89], v[70:71], s[2:3]
	v_mul_f64 v[90:91], v[68:69], s[2:3]
	v_add_f64 v[92:93], v[34:35], v[18:19]
	v_add_f64 v[94:95], v[16:17], v[12:13]
	;; [unrolled: 1-line block ×4, first 2 shown]
	v_add_f64 v[18:19], v[34:35], -v[18:19]
	v_add_f64 v[12:13], v[16:17], -v[12:13]
	s_mov_b32 s10, 0xe8584cab
	s_mov_b32 s11, 0x3febb67a
	v_fma_f64 v[16:17], v[14:15], s[8:9], v[28:29]
	v_fma_f64 v[28:29], v[26:27], s[8:9], v[30:31]
	;; [unrolled: 1-line block ×6, first 2 shown]
	v_fma_f64 v[76:77], v[14:15], s[2:3], -v[80:81]
	v_fma_f64 v[78:79], v[26:27], s[2:3], -v[82:83]
	v_fma_f64 v[80:81], v[20:21], s[16:17], v[84:85]
	v_fma_f64 v[82:83], v[42:43], s[16:17], v[86:87]
	;; [unrolled: 1-line block ×4, first 2 shown]
	v_add_f64 v[88:89], v[68:69], v[38:39]
	v_add_f64 v[90:91], v[70:71], v[40:41]
	;; [unrolled: 1-line block ×8, first 2 shown]
	s_mov_b32 s3, 0xbfebb67a
	s_mov_b32 s2, s10
	v_fma_f64 v[16:17], v[18:19], s[10:11], v[16:17]
	v_fma_f64 v[28:29], v[12:13], s[10:11], v[28:29]
	v_fma_f64 v[30:31], v[92:93], -0.5, v[30:31]
	v_fma_f64 v[32:33], v[94:95], -0.5, v[32:33]
	;; [unrolled: 1-line block ×4, first 2 shown]
	v_fma_f64 v[76:77], v[18:19], s[10:11], v[76:77]
	v_fma_f64 v[78:79], v[12:13], s[10:11], v[78:79]
	v_fma_f64 v[80:81], v[92:93], -0.5, v[80:81]
	v_fma_f64 v[82:83], v[94:95], -0.5, v[82:83]
	v_fma_f64 v[12:13], v[12:13], s[2:3], v[84:85]
	v_fma_f64 v[18:19], v[18:19], s[2:3], v[86:87]
	v_add_f64 v[84:85], v[88:89], -v[14:15]
	v_add_f64 v[86:87], v[90:91], -v[26:27]
	s_mov_b32 s8, 0x748a0bf8
	v_fma_f64 v[88:89], v[104:105], -0.5, v[100:101]
	s_mov_b32 s16, 0x42522d1b
	v_add_f64 v[8:9], v[8:9], v[96:97]
	v_add_f64 v[10:11], v[10:11], v[98:99]
	s_mov_b32 s9, 0x3fd5e3a8
	s_mov_b32 s17, 0xbfee11f6
	v_fma_f64 v[90:91], v[106:107], -0.5, v[102:103]
	v_fma_f64 v[68:69], v[68:69], s[8:9], v[16:17]
	v_fma_f64 v[28:29], v[70:71], s[8:9], v[28:29]
	;; [unrolled: 1-line block ×12, first 2 shown]
	v_mul_f64 v[72:73], v[84:85], s[10:11]
	v_mul_f64 v[26:27], v[86:87], s[10:11]
	v_fma_f64 v[4:5], v[86:87], s[2:3], v[88:89]
	v_add_f64 v[22:23], v[22:23], v[8:9]
	v_add_f64 v[74:75], v[24:25], v[10:11]
	v_fma_f64 v[6:7], v[84:85], s[10:11], v[90:91]
	v_add_f64 v[8:9], v[16:17], -v[28:29]
	v_add_f64 v[10:11], v[68:69], v[20:21]
	v_add_f64 v[12:13], v[38:39], -v[36:37]
	v_add_f64 v[14:15], v[34:35], v[40:41]
	;; [unrolled: 2-line block ×3, first 2 shown]
	v_fma_f64 v[20:21], v[26:27], 2.0, v[4:5]
	v_add_f64 v[24:25], v[0:1], v[22:23]
	v_add_f64 v[26:27], v[2:3], v[74:75]
	v_fma_f64 v[22:23], v[72:73], -2.0, v[6:7]
	v_fma_f64 v[0:1], v[28:29], 2.0, v[8:9]
	v_fma_f64 v[2:3], v[68:69], -2.0, v[10:11]
	v_fma_f64 v[28:29], v[36:37], 2.0, v[12:13]
	;; [unrolled: 2-line block ×3, first 2 shown]
	v_fma_f64 v[34:35], v[70:71], -2.0, v[18:19]
	v_add_nc_u32_e32 v37, 0x340, v184
	v_add_nc_u32_e32 v36, 0x4e0, v184
	ds_write_b128 v183, v[4:7] offset:624
	ds_write_b128 v183, v[24:27]
	ds_write_b128 v183, v[8:11] offset:208
	ds_write_b128 v183, v[12:15] offset:832
	;; [unrolled: 1-line block ×7, first 2 shown]
	s_waitcnt lgkmcnt(0)
	s_barrier
	buffer_gl0_inv
	ds_read_b128 v[8:11], v181
	ds_read_b128 v[12:15], v181 offset:416
	ds_read_b128 v[24:27], v181 offset:1872
	;; [unrolled: 1-line block ×7, first 2 shown]
	s_and_saveexec_b32 s1, s0
	s_cbranch_execz .LBB0_19
; %bb.18:
	ds_read_b128 v[0:3], v181 offset:1664
	ds_read_b128 v[64:67], v181 offset:3536
.LBB0_19:
	s_or_b32 exec_lo, exec_lo, s1
	s_waitcnt lgkmcnt(5)
	v_mul_f64 v[38:39], v[58:59], v[26:27]
	v_mul_f64 v[40:41], v[58:59], v[24:25]
	s_waitcnt lgkmcnt(4)
	v_mul_f64 v[42:43], v[50:51], v[22:23]
	v_mul_f64 v[50:51], v[50:51], v[20:21]
	s_waitcnt lgkmcnt(1)
	v_mul_f64 v[58:59], v[62:63], v[34:35]
	v_mul_f64 v[62:63], v[62:63], v[32:33]
	s_waitcnt lgkmcnt(0)
	v_mul_f64 v[68:69], v[54:55], v[30:31]
	v_mul_f64 v[54:55], v[54:55], v[28:29]
	v_fma_f64 v[24:25], v[56:57], v[24:25], v[38:39]
	v_fma_f64 v[26:27], v[56:57], v[26:27], -v[40:41]
	v_fma_f64 v[38:39], v[48:49], v[20:21], v[42:43]
	v_fma_f64 v[40:41], v[48:49], v[22:23], -v[50:51]
	;; [unrolled: 2-line block ×4, first 2 shown]
	v_add_f64 v[20:21], v[8:9], -v[24:25]
	v_add_f64 v[22:23], v[10:11], -v[26:27]
	;; [unrolled: 1-line block ×8, first 2 shown]
	v_fma_f64 v[8:9], v[8:9], 2.0, -v[20:21]
	v_fma_f64 v[10:11], v[10:11], 2.0, -v[22:23]
	;; [unrolled: 1-line block ×8, first 2 shown]
	ds_write_b128 v182, v[20:23] offset:1872
	ds_write_b128 v182, v[24:27] offset:2288
	ds_write_b128 v182, v[8:11]
	ds_write_b128 v182, v[12:15] offset:416
	ds_write_b128 v182, v[16:19] offset:832
	;; [unrolled: 1-line block ×5, first 2 shown]
	s_and_saveexec_b32 s1, s0
	s_cbranch_execz .LBB0_21
; %bb.20:
	v_mul_f64 v[4:5], v[46:47], v[64:65]
	v_mul_f64 v[6:7], v[46:47], v[66:67]
	v_fma_f64 v[4:5], v[44:45], v[66:67], -v[4:5]
	v_fma_f64 v[8:9], v[44:45], v[64:65], v[6:7]
	v_add_f64 v[6:7], v[2:3], -v[4:5]
	v_add_f64 v[4:5], v[0:1], -v[8:9]
	v_fma_f64 v[2:3], v[2:3], 2.0, -v[6:7]
	v_fma_f64 v[0:1], v[0:1], 2.0, -v[4:5]
	ds_write_b128 v182, v[0:3] offset:1664
	ds_write_b128 v182, v[4:7] offset:3536
.LBB0_21:
	s_or_b32 exec_lo, exec_lo, s1
	s_waitcnt lgkmcnt(0)
	s_barrier
	buffer_gl0_inv
	s_and_b32 exec_lo, exec_lo, vcc_lo
	s_cbranch_execz .LBB0_23
; %bb.22:
	s_clause 0x1
	global_load_dwordx4 v[0:3], v214, s[14:15]
	global_load_dwordx4 v[4:7], v214, s[14:15] offset:288
	v_add_co_u32 v24, s0, s14, v214
	v_add_co_ci_u32_e64 v25, null, s15, 0, s0
	s_clause 0x3
	global_load_dwordx4 v[8:11], v214, s[14:15] offset:576
	global_load_dwordx4 v[12:15], v214, s[14:15] offset:864
	;; [unrolled: 1-line block ×4, first 2 shown]
	v_add_co_u32 v96, vcc_lo, 0x800, v24
	v_add_co_ci_u32_e32 v97, vcc_lo, 0, v25, vcc_lo
	s_clause 0x5
	global_load_dwordx4 v[24:27], v214, s[14:15] offset:1728
	global_load_dwordx4 v[28:31], v214, s[14:15] offset:2016
	global_load_dwordx4 v[32:35], v[96:97], off offset:256
	global_load_dwordx4 v[36:39], v[96:97], off offset:544
	;; [unrolled: 1-line block ×4, first 2 shown]
	v_mad_u64_u32 v[48:49], null, s6, v112, 0
	v_mad_u64_u32 v[50:51], null, s4, v215, 0
	v_lshl_add_u32 v142, v213, 4, v214
	s_mul_i32 s0, s5, 0x120
	s_mul_hi_u32 s1, s4, 0x120
	s_mul_i32 s2, s4, 0x120
	s_add_i32 s3, s1, s0
	s_mov_b32 s0, 0x11811812
	v_mad_u64_u32 v[52:53], null, s7, v112, v[49:50]
	s_mov_b32 s1, 0x3f718118
	v_mad_u64_u32 v[53:54], null, s5, v215, v[51:52]
	v_mov_b32_e32 v49, v52
	v_lshlrev_b64 v[48:49], 4, v[48:49]
	v_mov_b32_e32 v51, v53
	v_lshlrev_b64 v[50:51], 4, v[50:51]
	v_add_co_u32 v48, vcc_lo, s12, v48
	v_add_co_ci_u32_e32 v49, vcc_lo, s13, v49, vcc_lo
	v_add_co_u32 v98, vcc_lo, v48, v50
	v_add_co_ci_u32_e32 v99, vcc_lo, v49, v51, vcc_lo
	ds_read_b128 v[48:51], v182
	ds_read_b128 v[52:55], v142 offset:288
	ds_read_b128 v[56:59], v142 offset:576
	;; [unrolled: 1-line block ×11, first 2 shown]
	v_add_co_u32 v100, vcc_lo, v98, s2
	v_add_co_ci_u32_e32 v101, vcc_lo, s3, v99, vcc_lo
	v_add_co_u32 v102, vcc_lo, v100, s2
	v_add_co_ci_u32_e32 v103, vcc_lo, s3, v101, vcc_lo
	;; [unrolled: 2-line block ×9, first 2 shown]
	s_waitcnt vmcnt(11) lgkmcnt(11)
	v_mul_f64 v[118:119], v[50:51], v[2:3]
	v_mul_f64 v[2:3], v[48:49], v[2:3]
	s_waitcnt vmcnt(10) lgkmcnt(10)
	v_mul_f64 v[120:121], v[54:55], v[6:7]
	v_mul_f64 v[6:7], v[52:53], v[6:7]
	;; [unrolled: 3-line block ×12, first 2 shown]
	v_fma_f64 v[48:49], v[48:49], v[0:1], v[118:119]
	v_fma_f64 v[2:3], v[0:1], v[50:51], -v[2:3]
	v_fma_f64 v[50:51], v[52:53], v[4:5], v[120:121]
	v_fma_f64 v[6:7], v[4:5], v[54:55], -v[6:7]
	;; [unrolled: 2-line block ×12, first 2 shown]
	v_mul_f64 v[0:1], v[48:49], s[0:1]
	v_mul_f64 v[2:3], v[2:3], s[0:1]
	;; [unrolled: 1-line block ×24, first 2 shown]
	v_add_co_u32 v48, vcc_lo, v116, s2
	v_add_co_ci_u32_e32 v49, vcc_lo, s3, v117, vcc_lo
	v_add_co_u32 v50, vcc_lo, v48, s2
	v_add_co_ci_u32_e32 v51, vcc_lo, s3, v49, vcc_lo
	global_store_dwordx4 v[98:99], v[0:3], off
	global_store_dwordx4 v[100:101], v[4:7], off
	;; [unrolled: 1-line block ×12, first 2 shown]
	global_load_dwordx4 v[0:3], v[96:97], off offset:1408
	ds_read_b128 v[4:7], v142 offset:3456
	s_waitcnt vmcnt(0) lgkmcnt(0)
	v_mul_f64 v[8:9], v[6:7], v[2:3]
	v_mul_f64 v[2:3], v[4:5], v[2:3]
	v_fma_f64 v[4:5], v[4:5], v[0:1], v[8:9]
	v_fma_f64 v[2:3], v[0:1], v[6:7], -v[2:3]
	v_mul_f64 v[0:1], v[4:5], s[0:1]
	v_mul_f64 v[2:3], v[2:3], s[0:1]
	v_add_co_u32 v4, vcc_lo, v50, s2
	v_add_co_ci_u32_e32 v5, vcc_lo, s3, v51, vcc_lo
	global_store_dwordx4 v[4:5], v[0:3], off
.LBB0_23:
	s_endpgm
	.section	.rodata,"a",@progbits
	.p2align	6, 0x0
	.amdhsa_kernel bluestein_single_back_len234_dim1_dp_op_CI_CI
		.amdhsa_group_segment_fixed_size 7488
		.amdhsa_private_segment_fixed_size 0
		.amdhsa_kernarg_size 104
		.amdhsa_user_sgpr_count 6
		.amdhsa_user_sgpr_private_segment_buffer 1
		.amdhsa_user_sgpr_dispatch_ptr 0
		.amdhsa_user_sgpr_queue_ptr 0
		.amdhsa_user_sgpr_kernarg_segment_ptr 1
		.amdhsa_user_sgpr_dispatch_id 0
		.amdhsa_user_sgpr_flat_scratch_init 0
		.amdhsa_user_sgpr_private_segment_size 0
		.amdhsa_wavefront_size32 1
		.amdhsa_uses_dynamic_stack 0
		.amdhsa_system_sgpr_private_segment_wavefront_offset 0
		.amdhsa_system_sgpr_workgroup_id_x 1
		.amdhsa_system_sgpr_workgroup_id_y 0
		.amdhsa_system_sgpr_workgroup_id_z 0
		.amdhsa_system_sgpr_workgroup_info 0
		.amdhsa_system_vgpr_workitem_id 0
		.amdhsa_next_free_vgpr 246
		.amdhsa_next_free_sgpr 46
		.amdhsa_reserve_vcc 1
		.amdhsa_reserve_flat_scratch 0
		.amdhsa_float_round_mode_32 0
		.amdhsa_float_round_mode_16_64 0
		.amdhsa_float_denorm_mode_32 3
		.amdhsa_float_denorm_mode_16_64 3
		.amdhsa_dx10_clamp 1
		.amdhsa_ieee_mode 1
		.amdhsa_fp16_overflow 0
		.amdhsa_workgroup_processor_mode 1
		.amdhsa_memory_ordered 1
		.amdhsa_forward_progress 0
		.amdhsa_shared_vgpr_count 0
		.amdhsa_exception_fp_ieee_invalid_op 0
		.amdhsa_exception_fp_denorm_src 0
		.amdhsa_exception_fp_ieee_div_zero 0
		.amdhsa_exception_fp_ieee_overflow 0
		.amdhsa_exception_fp_ieee_underflow 0
		.amdhsa_exception_fp_ieee_inexact 0
		.amdhsa_exception_int_div_zero 0
	.end_amdhsa_kernel
	.text
.Lfunc_end0:
	.size	bluestein_single_back_len234_dim1_dp_op_CI_CI, .Lfunc_end0-bluestein_single_back_len234_dim1_dp_op_CI_CI
                                        ; -- End function
	.section	.AMDGPU.csdata,"",@progbits
; Kernel info:
; codeLenInByte = 15916
; NumSgprs: 48
; NumVgprs: 246
; ScratchSize: 0
; MemoryBound: 0
; FloatMode: 240
; IeeeMode: 1
; LDSByteSize: 7488 bytes/workgroup (compile time only)
; SGPRBlocks: 5
; VGPRBlocks: 30
; NumSGPRsForWavesPerEU: 48
; NumVGPRsForWavesPerEU: 246
; Occupancy: 4
; WaveLimiterHint : 1
; COMPUTE_PGM_RSRC2:SCRATCH_EN: 0
; COMPUTE_PGM_RSRC2:USER_SGPR: 6
; COMPUTE_PGM_RSRC2:TRAP_HANDLER: 0
; COMPUTE_PGM_RSRC2:TGID_X_EN: 1
; COMPUTE_PGM_RSRC2:TGID_Y_EN: 0
; COMPUTE_PGM_RSRC2:TGID_Z_EN: 0
; COMPUTE_PGM_RSRC2:TIDIG_COMP_CNT: 0
	.text
	.p2alignl 6, 3214868480
	.fill 48, 4, 3214868480
	.type	__hip_cuid_bfbe8877967d6281,@object ; @__hip_cuid_bfbe8877967d6281
	.section	.bss,"aw",@nobits
	.globl	__hip_cuid_bfbe8877967d6281
__hip_cuid_bfbe8877967d6281:
	.byte	0                               ; 0x0
	.size	__hip_cuid_bfbe8877967d6281, 1

	.ident	"AMD clang version 19.0.0git (https://github.com/RadeonOpenCompute/llvm-project roc-6.4.0 25133 c7fe45cf4b819c5991fe208aaa96edf142730f1d)"
	.section	".note.GNU-stack","",@progbits
	.addrsig
	.addrsig_sym __hip_cuid_bfbe8877967d6281
	.amdgpu_metadata
---
amdhsa.kernels:
  - .args:
      - .actual_access:  read_only
        .address_space:  global
        .offset:         0
        .size:           8
        .value_kind:     global_buffer
      - .actual_access:  read_only
        .address_space:  global
        .offset:         8
        .size:           8
        .value_kind:     global_buffer
      - .actual_access:  read_only
        .address_space:  global
        .offset:         16
        .size:           8
        .value_kind:     global_buffer
      - .actual_access:  read_only
        .address_space:  global
        .offset:         24
        .size:           8
        .value_kind:     global_buffer
      - .actual_access:  read_only
        .address_space:  global
        .offset:         32
        .size:           8
        .value_kind:     global_buffer
      - .offset:         40
        .size:           8
        .value_kind:     by_value
      - .address_space:  global
        .offset:         48
        .size:           8
        .value_kind:     global_buffer
      - .address_space:  global
        .offset:         56
        .size:           8
        .value_kind:     global_buffer
      - .address_space:  global
        .offset:         64
        .size:           8
        .value_kind:     global_buffer
      - .address_space:  global
        .offset:         72
        .size:           8
        .value_kind:     global_buffer
      - .offset:         80
        .size:           4
        .value_kind:     by_value
      - .address_space:  global
        .offset:         88
        .size:           8
        .value_kind:     global_buffer
      - .address_space:  global
        .offset:         96
        .size:           8
        .value_kind:     global_buffer
    .group_segment_fixed_size: 7488
    .kernarg_segment_align: 8
    .kernarg_segment_size: 104
    .language:       OpenCL C
    .language_version:
      - 2
      - 0
    .max_flat_workgroup_size: 52
    .name:           bluestein_single_back_len234_dim1_dp_op_CI_CI
    .private_segment_fixed_size: 0
    .sgpr_count:     48
    .sgpr_spill_count: 0
    .symbol:         bluestein_single_back_len234_dim1_dp_op_CI_CI.kd
    .uniform_work_group_size: 1
    .uses_dynamic_stack: false
    .vgpr_count:     246
    .vgpr_spill_count: 0
    .wavefront_size: 32
    .workgroup_processor_mode: 1
amdhsa.target:   amdgcn-amd-amdhsa--gfx1030
amdhsa.version:
  - 1
  - 2
...

	.end_amdgpu_metadata
